;; amdgpu-corpus repo=ROCm/rocFFT kind=compiled arch=gfx1201 opt=O3
	.text
	.amdgcn_target "amdgcn-amd-amdhsa--gfx1201"
	.amdhsa_code_object_version 6
	.protected	fft_rtc_back_len1183_factors_7_13_13_wgs_182_tpt_91_halfLds_half_op_CI_CI_sbrr_dirReg ; -- Begin function fft_rtc_back_len1183_factors_7_13_13_wgs_182_tpt_91_halfLds_half_op_CI_CI_sbrr_dirReg
	.globl	fft_rtc_back_len1183_factors_7_13_13_wgs_182_tpt_91_halfLds_half_op_CI_CI_sbrr_dirReg
	.p2align	8
	.type	fft_rtc_back_len1183_factors_7_13_13_wgs_182_tpt_91_halfLds_half_op_CI_CI_sbrr_dirReg,@function
fft_rtc_back_len1183_factors_7_13_13_wgs_182_tpt_91_halfLds_half_op_CI_CI_sbrr_dirReg: ; @fft_rtc_back_len1183_factors_7_13_13_wgs_182_tpt_91_halfLds_half_op_CI_CI_sbrr_dirReg
; %bb.0:
	s_clause 0x2
	s_load_b128 s[12:15], s[0:1], 0x18
	s_load_b128 s[8:11], s[0:1], 0x0
	;; [unrolled: 1-line block ×3, first 2 shown]
	v_mul_u32_u24_e32 v1, 0x2d1, v0
	v_mov_b32_e32 v7, 0
	v_mov_b32_e32 v5, 0
	;; [unrolled: 1-line block ×3, first 2 shown]
	s_wait_kmcnt 0x0
	s_load_b64 s[18:19], s[12:13], 0x0
	s_load_b64 s[16:17], s[14:15], 0x0
	v_lshrrev_b32_e32 v11, 16, v1
	v_cmp_lt_u64_e64 s2, s[10:11], 2
	v_mov_b32_e32 v10, v7
	s_delay_alu instid0(VALU_DEP_3) | instskip(NEXT) | instid1(VALU_DEP_3)
	v_lshl_add_u32 v9, ttmp9, 1, v11
	s_and_b32 vcc_lo, exec_lo, s2
	s_cbranch_vccnz .LBB0_8
; %bb.1:
	s_load_b64 s[2:3], s[0:1], 0x10
	v_mov_b32_e32 v5, 0
	v_mov_b32_e32 v6, 0
	s_delay_alu instid0(VALU_DEP_2)
	v_mov_b32_e32 v1, v5
	s_add_nc_u64 s[20:21], s[14:15], 8
	s_add_nc_u64 s[22:23], s[12:13], 8
	s_mov_b64 s[24:25], 1
	v_mov_b32_e32 v2, v6
	s_wait_kmcnt 0x0
	s_add_nc_u64 s[26:27], s[2:3], 8
	s_mov_b32 s3, 0
.LBB0_2:                                ; =>This Inner Loop Header: Depth=1
	s_load_b64 s[28:29], s[26:27], 0x0
                                        ; implicit-def: $vgpr3_vgpr4
	s_mov_b32 s2, exec_lo
	s_wait_kmcnt 0x0
	v_or_b32_e32 v8, s29, v10
	s_delay_alu instid0(VALU_DEP_1)
	v_cmpx_ne_u64_e32 0, v[7:8]
	s_wait_alu 0xfffe
	s_xor_b32 s30, exec_lo, s2
	s_cbranch_execz .LBB0_4
; %bb.3:                                ;   in Loop: Header=BB0_2 Depth=1
	s_cvt_f32_u32 s2, s28
	s_cvt_f32_u32 s31, s29
	s_sub_nc_u64 s[36:37], 0, s[28:29]
	s_wait_alu 0xfffe
	s_delay_alu instid0(SALU_CYCLE_1) | instskip(SKIP_1) | instid1(SALU_CYCLE_2)
	s_fmamk_f32 s2, s31, 0x4f800000, s2
	s_wait_alu 0xfffe
	v_s_rcp_f32 s2, s2
	s_delay_alu instid0(TRANS32_DEP_1) | instskip(SKIP_1) | instid1(SALU_CYCLE_2)
	s_mul_f32 s2, s2, 0x5f7ffffc
	s_wait_alu 0xfffe
	s_mul_f32 s31, s2, 0x2f800000
	s_wait_alu 0xfffe
	s_delay_alu instid0(SALU_CYCLE_2) | instskip(SKIP_1) | instid1(SALU_CYCLE_2)
	s_trunc_f32 s31, s31
	s_wait_alu 0xfffe
	s_fmamk_f32 s2, s31, 0xcf800000, s2
	s_cvt_u32_f32 s35, s31
	s_wait_alu 0xfffe
	s_delay_alu instid0(SALU_CYCLE_1) | instskip(SKIP_1) | instid1(SALU_CYCLE_2)
	s_cvt_u32_f32 s34, s2
	s_wait_alu 0xfffe
	s_mul_u64 s[38:39], s[36:37], s[34:35]
	s_wait_alu 0xfffe
	s_mul_hi_u32 s41, s34, s39
	s_mul_i32 s40, s34, s39
	s_mul_hi_u32 s2, s34, s38
	s_mul_i32 s33, s35, s38
	s_wait_alu 0xfffe
	s_add_nc_u64 s[40:41], s[2:3], s[40:41]
	s_mul_hi_u32 s31, s35, s38
	s_mul_hi_u32 s42, s35, s39
	s_add_co_u32 s2, s40, s33
	s_wait_alu 0xfffe
	s_add_co_ci_u32 s2, s41, s31
	s_mul_i32 s38, s35, s39
	s_add_co_ci_u32 s39, s42, 0
	s_wait_alu 0xfffe
	s_add_nc_u64 s[38:39], s[2:3], s[38:39]
	s_wait_alu 0xfffe
	v_add_co_u32 v3, s2, s34, s38
	s_delay_alu instid0(VALU_DEP_1) | instskip(SKIP_1) | instid1(VALU_DEP_1)
	s_cmp_lg_u32 s2, 0
	s_add_co_ci_u32 s35, s35, s39
	v_readfirstlane_b32 s34, v3
	s_wait_alu 0xfffe
	s_delay_alu instid0(VALU_DEP_1)
	s_mul_u64 s[36:37], s[36:37], s[34:35]
	s_wait_alu 0xfffe
	s_mul_hi_u32 s39, s34, s37
	s_mul_i32 s38, s34, s37
	s_mul_hi_u32 s2, s34, s36
	s_mul_i32 s33, s35, s36
	s_wait_alu 0xfffe
	s_add_nc_u64 s[38:39], s[2:3], s[38:39]
	s_mul_hi_u32 s31, s35, s36
	s_mul_hi_u32 s34, s35, s37
	s_wait_alu 0xfffe
	s_add_co_u32 s2, s38, s33
	s_add_co_ci_u32 s2, s39, s31
	s_mul_i32 s36, s35, s37
	s_add_co_ci_u32 s37, s34, 0
	s_wait_alu 0xfffe
	s_add_nc_u64 s[36:37], s[2:3], s[36:37]
	s_wait_alu 0xfffe
	v_add_co_u32 v8, s2, v3, s36
	s_delay_alu instid0(VALU_DEP_1) | instskip(SKIP_1) | instid1(VALU_DEP_1)
	s_cmp_lg_u32 s2, 0
	s_add_co_ci_u32 s2, s35, s37
	v_mul_hi_u32 v16, v9, v8
	s_wait_alu 0xfffe
	v_mad_co_u64_u32 v[3:4], null, v9, s2, 0
	v_mad_co_u64_u32 v[12:13], null, v10, v8, 0
	;; [unrolled: 1-line block ×3, first 2 shown]
	s_delay_alu instid0(VALU_DEP_3) | instskip(SKIP_1) | instid1(VALU_DEP_4)
	v_add_co_u32 v3, vcc_lo, v16, v3
	s_wait_alu 0xfffd
	v_add_co_ci_u32_e32 v4, vcc_lo, 0, v4, vcc_lo
	s_delay_alu instid0(VALU_DEP_2) | instskip(SKIP_1) | instid1(VALU_DEP_2)
	v_add_co_u32 v3, vcc_lo, v3, v12
	s_wait_alu 0xfffd
	v_add_co_ci_u32_e32 v3, vcc_lo, v4, v13, vcc_lo
	s_wait_alu 0xfffd
	v_add_co_ci_u32_e32 v4, vcc_lo, 0, v15, vcc_lo
	s_delay_alu instid0(VALU_DEP_2) | instskip(SKIP_1) | instid1(VALU_DEP_2)
	v_add_co_u32 v8, vcc_lo, v3, v14
	s_wait_alu 0xfffd
	v_add_co_ci_u32_e32 v12, vcc_lo, 0, v4, vcc_lo
	s_delay_alu instid0(VALU_DEP_2) | instskip(SKIP_1) | instid1(VALU_DEP_3)
	v_mul_lo_u32 v13, s29, v8
	v_mad_co_u64_u32 v[3:4], null, s28, v8, 0
	v_mul_lo_u32 v14, s28, v12
	s_delay_alu instid0(VALU_DEP_2) | instskip(NEXT) | instid1(VALU_DEP_2)
	v_sub_co_u32 v3, vcc_lo, v9, v3
	v_add3_u32 v4, v4, v14, v13
	s_delay_alu instid0(VALU_DEP_1) | instskip(SKIP_1) | instid1(VALU_DEP_1)
	v_sub_nc_u32_e32 v13, v10, v4
	s_wait_alu 0xfffd
	v_subrev_co_ci_u32_e64 v13, s2, s29, v13, vcc_lo
	v_add_co_u32 v14, s2, v8, 2
	s_wait_alu 0xf1ff
	v_add_co_ci_u32_e64 v15, s2, 0, v12, s2
	v_sub_co_u32 v16, s2, v3, s28
	v_sub_co_ci_u32_e32 v4, vcc_lo, v10, v4, vcc_lo
	s_wait_alu 0xf1ff
	v_subrev_co_ci_u32_e64 v13, s2, 0, v13, s2
	s_delay_alu instid0(VALU_DEP_3) | instskip(NEXT) | instid1(VALU_DEP_3)
	v_cmp_le_u32_e32 vcc_lo, s28, v16
	v_cmp_eq_u32_e64 s2, s29, v4
	s_wait_alu 0xfffd
	v_cndmask_b32_e64 v16, 0, -1, vcc_lo
	v_cmp_le_u32_e32 vcc_lo, s29, v13
	s_wait_alu 0xfffd
	v_cndmask_b32_e64 v17, 0, -1, vcc_lo
	v_cmp_le_u32_e32 vcc_lo, s28, v3
	;; [unrolled: 3-line block ×3, first 2 shown]
	s_wait_alu 0xfffd
	v_cndmask_b32_e64 v18, 0, -1, vcc_lo
	v_cmp_eq_u32_e32 vcc_lo, s29, v13
	s_wait_alu 0xf1ff
	s_delay_alu instid0(VALU_DEP_2)
	v_cndmask_b32_e64 v3, v18, v3, s2
	s_wait_alu 0xfffd
	v_cndmask_b32_e32 v13, v17, v16, vcc_lo
	v_add_co_u32 v16, vcc_lo, v8, 1
	s_wait_alu 0xfffd
	v_add_co_ci_u32_e32 v17, vcc_lo, 0, v12, vcc_lo
	s_delay_alu instid0(VALU_DEP_3) | instskip(SKIP_1) | instid1(VALU_DEP_2)
	v_cmp_ne_u32_e32 vcc_lo, 0, v13
	s_wait_alu 0xfffd
	v_dual_cndmask_b32 v4, v17, v15 :: v_dual_cndmask_b32 v13, v16, v14
	v_cmp_ne_u32_e32 vcc_lo, 0, v3
	s_wait_alu 0xfffd
	s_delay_alu instid0(VALU_DEP_2) | instskip(NEXT) | instid1(VALU_DEP_3)
	v_cndmask_b32_e32 v4, v12, v4, vcc_lo
	v_cndmask_b32_e32 v3, v8, v13, vcc_lo
.LBB0_4:                                ;   in Loop: Header=BB0_2 Depth=1
	s_wait_alu 0xfffe
	s_and_not1_saveexec_b32 s2, s30
	s_cbranch_execz .LBB0_6
; %bb.5:                                ;   in Loop: Header=BB0_2 Depth=1
	v_cvt_f32_u32_e32 v3, s28
	s_sub_co_i32 s30, 0, s28
	s_delay_alu instid0(VALU_DEP_1) | instskip(NEXT) | instid1(TRANS32_DEP_1)
	v_rcp_iflag_f32_e32 v3, v3
	v_mul_f32_e32 v3, 0x4f7ffffe, v3
	s_delay_alu instid0(VALU_DEP_1) | instskip(SKIP_1) | instid1(VALU_DEP_1)
	v_cvt_u32_f32_e32 v3, v3
	s_wait_alu 0xfffe
	v_mul_lo_u32 v4, s30, v3
	s_delay_alu instid0(VALU_DEP_1) | instskip(NEXT) | instid1(VALU_DEP_1)
	v_mul_hi_u32 v4, v3, v4
	v_add_nc_u32_e32 v3, v3, v4
	s_delay_alu instid0(VALU_DEP_1) | instskip(NEXT) | instid1(VALU_DEP_1)
	v_mul_hi_u32 v3, v9, v3
	v_mul_lo_u32 v4, v3, s28
	v_add_nc_u32_e32 v8, 1, v3
	s_delay_alu instid0(VALU_DEP_2) | instskip(NEXT) | instid1(VALU_DEP_1)
	v_sub_nc_u32_e32 v4, v9, v4
	v_subrev_nc_u32_e32 v12, s28, v4
	v_cmp_le_u32_e32 vcc_lo, s28, v4
	s_wait_alu 0xfffd
	s_delay_alu instid0(VALU_DEP_2) | instskip(SKIP_1) | instid1(VALU_DEP_2)
	v_cndmask_b32_e32 v4, v4, v12, vcc_lo
	v_cndmask_b32_e32 v3, v3, v8, vcc_lo
	v_cmp_le_u32_e32 vcc_lo, s28, v4
	s_delay_alu instid0(VALU_DEP_2) | instskip(SKIP_2) | instid1(VALU_DEP_2)
	v_add_nc_u32_e32 v8, 1, v3
	v_mov_b32_e32 v4, v7
	s_wait_alu 0xfffd
	v_cndmask_b32_e32 v3, v3, v8, vcc_lo
.LBB0_6:                                ;   in Loop: Header=BB0_2 Depth=1
	s_wait_alu 0xfffe
	s_or_b32 exec_lo, exec_lo, s2
	v_mul_lo_u32 v8, v4, s28
	s_delay_alu instid0(VALU_DEP_2)
	v_mul_lo_u32 v14, v3, s29
	s_load_b64 s[30:31], s[22:23], 0x0
	v_mad_co_u64_u32 v[12:13], null, v3, s28, 0
	s_load_b64 s[28:29], s[20:21], 0x0
	s_add_nc_u64 s[24:25], s[24:25], 1
	s_add_nc_u64 s[20:21], s[20:21], 8
	s_wait_alu 0xfffe
	v_cmp_ge_u64_e64 s2, s[24:25], s[10:11]
	s_add_nc_u64 s[22:23], s[22:23], 8
	s_add_nc_u64 s[26:27], s[26:27], 8
	v_add3_u32 v8, v13, v14, v8
	v_sub_co_u32 v9, vcc_lo, v9, v12
	s_wait_alu 0xfffd
	s_delay_alu instid0(VALU_DEP_2) | instskip(SKIP_2) | instid1(VALU_DEP_1)
	v_sub_co_ci_u32_e32 v8, vcc_lo, v10, v8, vcc_lo
	s_and_b32 vcc_lo, exec_lo, s2
	s_wait_kmcnt 0x0
	v_mul_lo_u32 v10, s30, v8
	v_mul_lo_u32 v12, s31, v9
	v_mad_co_u64_u32 v[5:6], null, s30, v9, v[5:6]
	v_mul_lo_u32 v8, s28, v8
	v_mul_lo_u32 v13, s29, v9
	v_mad_co_u64_u32 v[1:2], null, s28, v9, v[1:2]
	s_delay_alu instid0(VALU_DEP_4) | instskip(NEXT) | instid1(VALU_DEP_2)
	v_add3_u32 v6, v12, v6, v10
	v_add3_u32 v2, v13, v2, v8
	s_wait_alu 0xfffe
	s_cbranch_vccnz .LBB0_9
; %bb.7:                                ;   in Loop: Header=BB0_2 Depth=1
	v_dual_mov_b32 v10, v4 :: v_dual_mov_b32 v9, v3
	s_branch .LBB0_2
.LBB0_8:
	v_dual_mov_b32 v1, v5 :: v_dual_mov_b32 v2, v6
	s_delay_alu instid0(VALU_DEP_2)
	v_dual_mov_b32 v3, v9 :: v_dual_mov_b32 v4, v10
.LBB0_9:
	s_load_b64 s[0:1], s[0:1], 0x28
	v_mul_hi_u32 v38, 0x2d02d03, v0
	s_lshl_b64 s[10:11], s[10:11], 3
                                        ; implicit-def: $vgpr8
	s_wait_alu 0xfffe
	s_add_nc_u64 s[2:3], s[14:15], s[10:11]
                                        ; implicit-def: $sgpr14
                                        ; implicit-def: $sgpr15
	s_wait_kmcnt 0x0
	v_cmp_gt_u64_e32 vcc_lo, s[0:1], v[3:4]
	v_cmp_le_u64_e64 s0, s[0:1], v[3:4]
	s_delay_alu instid0(VALU_DEP_1)
	s_and_saveexec_b32 s1, s0
	s_wait_alu 0xfffe
	s_xor_b32 s0, exec_lo, s1
; %bb.10:
	v_mul_u32_u24_e32 v5, 0x5b, v38
	s_mov_b32 s15, 0
	s_mov_b32 s14, 0
                                        ; implicit-def: $vgpr38
	s_delay_alu instid0(VALU_DEP_1)
	v_sub_nc_u32_e32 v8, v0, v5
                                        ; implicit-def: $vgpr0
                                        ; implicit-def: $vgpr5_vgpr6
; %bb.11:
	s_wait_alu 0xfffe
	s_or_saveexec_b32 s1, s0
	s_load_b64 s[2:3], s[2:3], 0x0
	v_dual_mov_b32 v15, s15 :: v_dual_mov_b32 v30, s15
	v_dual_mov_b32 v7, s14 :: v_dual_mov_b32 v22, s15
	;; [unrolled: 1-line block ×4, first 2 shown]
	v_mov_b32_e32 v17, s15
                                        ; implicit-def: $vgpr31
                                        ; implicit-def: $vgpr29
                                        ; implicit-def: $vgpr32
                                        ; implicit-def: $vgpr9
                                        ; implicit-def: $vgpr33
                                        ; implicit-def: $vgpr10
                                        ; implicit-def: $vgpr34
                                        ; implicit-def: $vgpr12
                                        ; implicit-def: $vgpr35
                                        ; implicit-def: $vgpr13
                                        ; implicit-def: $vgpr36
                                        ; implicit-def: $vgpr14
                                        ; implicit-def: $vgpr37
                                        ; implicit-def: $vgpr16
                                        ; implicit-def: $vgpr28
                                        ; implicit-def: $vgpr25
                                        ; implicit-def: $vgpr27
                                        ; implicit-def: $vgpr24
                                        ; implicit-def: $vgpr26
                                        ; implicit-def: $vgpr23
	s_xor_b32 exec_lo, exec_lo, s1
	s_cbranch_execz .LBB0_15
; %bb.12:
	s_add_nc_u64 s[10:11], s[12:13], s[10:11]
	v_mul_u32_u24_e32 v7, 0x5b, v38
	s_load_b64 s[10:11], s[10:11], 0x0
	v_lshlrev_b64_e32 v[5:6], 2, v[5:6]
                                        ; implicit-def: $vgpr27
                                        ; implicit-def: $vgpr28
	v_mov_b32_e32 v30, 0
	s_delay_alu instid0(VALU_DEP_3) | instskip(NEXT) | instid1(VALU_DEP_1)
	v_sub_nc_u32_e32 v8, v0, v7
	v_mad_co_u64_u32 v[9:10], null, s18, v8, 0
	v_add_nc_u32_e32 v21, 0xa9, v8
	v_add_nc_u32_e32 v24, 0x152, v8
	s_delay_alu instid0(VALU_DEP_3) | instskip(NEXT) | instid1(VALU_DEP_3)
	v_mov_b32_e32 v0, v10
	v_mad_co_u64_u32 v[12:13], null, s18, v21, 0
	s_wait_kmcnt 0x0
	v_mul_lo_u32 v10, s11, v3
	v_mul_lo_u32 v22, s10, v4
	v_mad_co_u64_u32 v[16:17], null, s10, v3, 0
	v_mad_co_u64_u32 v[14:15], null, s18, v24, 0
	v_add_nc_u32_e32 v25, 0x1fb, v8
	v_mad_co_u64_u32 v[18:19], null, s19, v8, v[0:1]
	v_mov_b32_e32 v0, v13
	v_add3_u32 v17, v17, v22, v10
	s_delay_alu instid0(VALU_DEP_4) | instskip(SKIP_1) | instid1(VALU_DEP_3)
	v_mad_co_u64_u32 v[19:20], null, s18, v25, 0
	v_dual_mov_b32 v7, v15 :: v_dual_add_nc_u32 v26, 0x2a4, v8
	v_lshlrev_b64_e32 v[15:16], 2, v[16:17]
	v_mad_co_u64_u32 v[21:22], null, s19, v21, v[0:1]
	v_mov_b32_e32 v10, v18
	s_delay_alu instid0(VALU_DEP_4) | instskip(NEXT) | instid1(VALU_DEP_4)
	v_mad_co_u64_u32 v[17:18], null, s19, v24, v[7:8]
	v_add_co_u32 v0, s0, s4, v15
	v_mov_b32_e32 v7, v20
	v_mov_b32_e32 v13, v21
	v_mad_co_u64_u32 v[22:23], null, s18, v26, 0
	s_wait_alu 0xf1ff
	v_add_co_ci_u32_e64 v16, s0, s5, v16, s0
	v_dual_mov_b32 v15, v17 :: v_dual_add_nc_u32 v18, 0x34d, v8
	v_add_co_u32 v0, s0, v0, v5
	s_wait_alu 0xf1ff
	s_delay_alu instid0(VALU_DEP_3)
	v_add_co_ci_u32_e64 v5, s0, v16, v6, s0
	v_mad_co_u64_u32 v[6:7], null, s19, v25, v[7:8]
	v_mov_b32_e32 v7, v23
	v_mad_co_u64_u32 v[16:17], null, s18, v18, 0
	v_add_nc_u32_e32 v21, 0x3f6, v8
	v_lshlrev_b64_e32 v[9:10], 2, v[9:10]
	v_lshlrev_b64_e32 v[12:13], 2, v[12:13]
	v_mov_b32_e32 v20, v6
	v_mad_co_u64_u32 v[23:24], null, s19, v26, v[7:8]
	v_mad_co_u64_u32 v[24:25], null, s18, v21, 0
	v_mov_b32_e32 v7, v17
	v_add_co_u32 v9, s0, v0, v9
	v_lshlrev_b64_e32 v[14:15], 2, v[14:15]
	s_wait_alu 0xf1ff
	v_add_co_ci_u32_e64 v10, s0, v5, v10, s0
	v_mad_co_u64_u32 v[6:7], null, s19, v18, v[7:8]
	v_mov_b32_e32 v7, v25
	v_lshlrev_b64_e32 v[18:19], 2, v[19:20]
	v_add_co_u32 v12, s0, v0, v12
	s_wait_alu 0xf1ff
	v_add_co_ci_u32_e64 v13, s0, v5, v13, s0
	v_mad_co_u64_u32 v[20:21], null, s19, v21, v[7:8]
	v_mov_b32_e32 v17, v6
	v_add_co_u32 v14, s0, v0, v14
	v_lshlrev_b64_e32 v[21:22], 2, v[22:23]
	s_wait_alu 0xf1ff
	v_add_co_ci_u32_e64 v15, s0, v5, v15, s0
	v_mov_b32_e32 v25, v20
	v_add_co_u32 v6, s0, v0, v18
	v_lshlrev_b64_e32 v[16:17], 2, v[16:17]
	s_wait_alu 0xf1ff
	v_add_co_ci_u32_e64 v7, s0, v5, v19, s0
	v_add_co_u32 v18, s0, v0, v21
	v_lshlrev_b64_e32 v[20:21], 2, v[24:25]
	s_wait_alu 0xf1ff
	v_add_co_ci_u32_e64 v19, s0, v5, v22, s0
	v_add_co_u32 v16, s0, v0, v16
	s_wait_alu 0xf1ff
	v_add_co_ci_u32_e64 v17, s0, v5, v17, s0
	v_add_co_u32 v20, s0, v0, v20
	s_wait_alu 0xf1ff
	v_add_co_ci_u32_e64 v21, s0, v5, v21, s0
	s_clause 0x6
	global_load_b32 v29, v[9:10], off
	global_load_b32 v9, v[12:13], off
	global_load_b32 v10, v[14:15], off
	global_load_b32 v12, v[6:7], off
	global_load_b32 v13, v[18:19], off
	global_load_b32 v14, v[16:17], off
	global_load_b32 v16, v[20:21], off
	v_dual_mov_b32 v17, 0 :: v_dual_mov_b32 v20, 0
	v_dual_mov_b32 v18, 0 :: v_dual_mov_b32 v21, 0
	;; [unrolled: 1-line block ×3, first 2 shown]
	v_mov_b32_e32 v15, 0
	s_mov_b32 s4, exec_lo
                                        ; implicit-def: $vgpr23
                                        ; implicit-def: $vgpr26
                                        ; implicit-def: $vgpr24
                                        ; implicit-def: $vgpr25
	v_cmpx_gt_u32_e32 0x4e, v8
	s_cbranch_execz .LBB0_14
; %bb.13:
	v_add_nc_u32_e32 v23, 0x5b, v8
	v_add_nc_u32_e32 v26, 0x104, v8
	;; [unrolled: 1-line block ×4, first 2 shown]
	s_delay_alu instid0(VALU_DEP_4) | instskip(NEXT) | instid1(VALU_DEP_4)
	v_mad_co_u64_u32 v[6:7], null, s18, v23, 0
	v_mad_co_u64_u32 v[17:18], null, s18, v26, 0
	s_delay_alu instid0(VALU_DEP_4) | instskip(NEXT) | instid1(VALU_DEP_3)
	v_mad_co_u64_u32 v[19:20], null, s18, v28, 0
	v_mad_co_u64_u32 v[23:24], null, s19, v23, v[7:8]
	s_delay_alu instid0(VALU_DEP_3) | instskip(NEXT) | instid1(VALU_DEP_3)
	v_dual_mov_b32 v15, v18 :: v_dual_add_nc_u32 v30, 0x256, v8
	v_mov_b32_e32 v7, v20
	s_wait_loadcnt 0x0
	s_delay_alu instid0(VALU_DEP_2) | instskip(SKIP_1) | instid1(VALU_DEP_3)
	v_mad_co_u64_u32 v[26:27], null, s19, v26, v[15:16]
	v_add_nc_u32_e32 v31, 0x2ff, v8
	v_mad_co_u64_u32 v[27:28], null, s19, v28, v[7:8]
	v_mov_b32_e32 v7, v23
	v_mad_co_u64_u32 v[21:22], null, s18, v30, 0
	v_mov_b32_e32 v18, v26
	v_mad_co_u64_u32 v[24:25], null, s18, v31, 0
	v_dual_mov_b32 v20, v27 :: v_dual_add_nc_u32 v23, 0x3a8, v8
	v_lshlrev_b64_e32 v[6:7], 2, v[6:7]
	v_mov_b32_e32 v15, v22
	v_lshlrev_b64_e32 v[17:18], 2, v[17:18]
	v_mov_b32_e32 v22, v25
	v_lshlrev_b64_e32 v[19:20], 2, v[19:20]
	s_delay_alu instid0(VALU_DEP_4) | instskip(SKIP_1) | instid1(VALU_DEP_4)
	v_mad_co_u64_u32 v[25:26], null, s19, v30, v[15:16]
	v_mad_co_u64_u32 v[26:27], null, s18, v23, 0
	;; [unrolled: 1-line block ×4, first 2 shown]
	s_delay_alu instid0(VALU_DEP_4)
	v_mov_b32_e32 v22, v25
	v_add_co_u32 v6, s0, v0, v6
	v_mov_b32_e32 v15, v27
	s_wait_alu 0xf1ff
	v_add_co_ci_u32_e64 v7, s0, v5, v7, s0
	v_add_co_u32 v17, s0, v0, v17
	s_delay_alu instid0(VALU_DEP_3)
	v_mad_co_u64_u32 v[27:28], null, s19, v23, v[15:16]
	v_mov_b32_e32 v15, v32
	s_wait_alu 0xf1ff
	v_add_co_ci_u32_e64 v18, s0, v5, v18, s0
	v_add_co_u32 v33, s0, v0, v19
	s_wait_alu 0xf1ff
	v_add_co_ci_u32_e64 v34, s0, v5, v20, s0
	v_lshlrev_b64_e32 v[19:20], 2, v[21:22]
	v_mad_co_u64_u32 v[21:22], null, s19, v35, v[15:16]
	v_mov_b32_e32 v25, v30
	s_delay_alu instid0(VALU_DEP_1) | instskip(NEXT) | instid1(VALU_DEP_4)
	v_lshlrev_b64_e32 v[22:23], 2, v[24:25]
	v_add_co_u32 v24, s0, v0, v19
	s_delay_alu instid0(VALU_DEP_4)
	v_mov_b32_e32 v32, v21
	s_wait_alu 0xf1ff
	v_add_co_ci_u32_e64 v25, s0, v5, v20, s0
	v_lshlrev_b64_e32 v[19:20], 2, v[26:27]
	v_add_co_u32 v21, s0, v0, v22
	v_lshlrev_b64_e32 v[26:27], 2, v[31:32]
	s_wait_alu 0xf1ff
	v_add_co_ci_u32_e64 v22, s0, v5, v23, s0
	s_delay_alu instid0(VALU_DEP_4)
	v_add_co_u32 v31, s0, v0, v19
	s_wait_alu 0xf1ff
	v_add_co_ci_u32_e64 v32, s0, v5, v20, s0
	v_add_co_u32 v26, s0, v0, v26
	s_wait_alu 0xf1ff
	v_add_co_ci_u32_e64 v27, s0, v5, v27, s0
	s_clause 0x6
	global_load_b32 v30, v[6:7], off
	global_load_b32 v19, v[17:18], off
	global_load_b32 v18, v[33:34], off
	global_load_b32 v23, v[24:25], off
	global_load_b32 v17, v[21:22], off
	global_load_b32 v24, v[31:32], off
	global_load_b32 v25, v[26:27], off
	s_wait_loadcnt 0x6
	v_lshrrev_b32_e32 v15, 16, v30
	s_wait_loadcnt 0x5
	v_lshrrev_b32_e32 v22, 16, v19
	;; [unrolled: 2-line block ×7, first 2 shown]
.LBB0_14:
	s_wait_alu 0xfffe
	s_or_b32 exec_lo, exec_lo, s4
	s_wait_loadcnt 0x6
	v_lshrrev_b32_e32 v31, 16, v29
	s_wait_loadcnt 0x5
	v_lshrrev_b32_e32 v32, 16, v9
	;; [unrolled: 2-line block ×7, first 2 shown]
	v_mov_b32_e32 v7, v8
.LBB0_15:
	s_or_b32 exec_lo, exec_lo, s1
	v_add_f16_e32 v5, v9, v16
	v_add_f16_e32 v6, v10, v14
	v_and_b32_e32 v0, 1, v11
	v_sub_f16_e32 v11, v32, v37
	v_add_f16_e32 v38, v12, v13
	v_sub_f16_e32 v39, v33, v36
	v_sub_f16_e32 v40, v35, v34
	v_add_f16_e32 v41, v6, v5
	v_sub_f16_e32 v42, v6, v5
	v_sub_f16_e32 v5, v5, v38
	v_sub_f16_e32 v6, v38, v6
	v_add_f16_e32 v43, v40, v39
	v_add_f16_e32 v38, v38, v41
	v_sub_f16_e32 v41, v40, v39
	v_sub_f16_e32 v39, v39, v11
	;; [unrolled: 1-line block ×3, first 2 shown]
	v_add_f16_e32 v11, v43, v11
	v_add_f16_e32 v29, v38, v29
	v_mul_f16_e32 v5, 0x3a52, v5
	v_mul_f16_e32 v43, 0x2b26, v6
	;; [unrolled: 1-line block ×4, first 2 shown]
	v_fmamk_f16 v38, v38, 0xbcab, v29
	v_fmamk_f16 v6, v6, 0x2b26, v5
	v_fma_f16 v43, v42, 0x39e0, -v43
	v_fma_f16 v5, v42, 0xb9e0, -v5
	;; [unrolled: 1-line block ×4, first 2 shown]
	v_fmamk_f16 v41, v40, 0xb574, v41
	v_add_f16_e32 v40, v43, v38
	v_add_f16_e32 v5, v5, v38
	v_fmac_f16_e32 v39, 0xb70e, v11
	v_fmac_f16_e32 v42, 0xb70e, v11
	v_cmp_eq_u32_e64 s0, 1, v0
	v_add_f16_e32 v6, v6, v38
	v_fmac_f16_e32 v41, 0xb70e, v11
	v_add_f16_e32 v44, v39, v40
	v_add_f16_e32 v38, v42, v5
	s_wait_alu 0xf1ff
	v_cndmask_b32_e64 v0, 0, 0x49f, s0
	v_mad_u32_u24 v11, v8, 14, 0
	v_sub_f16_e32 v5, v5, v42
	v_sub_f16_e32 v39, v40, v39
	v_add_f16_e32 v42, v41, v6
	v_cmp_gt_u32_e64 s0, 0x4e, v8
	v_lshl_add_u32 v43, v0, 1, v11
	v_pack_b32_f16 v40, v44, v5
	v_pack_b32_f16 v39, v38, v39
	;; [unrolled: 1-line block ×3, first 2 shown]
	v_sub_f16_e32 v5, v6, v41
	ds_store_b96 v43, v[38:40]
	ds_store_b16 v43, v5 offset:12
	s_and_saveexec_b32 s1, s0
	s_cbranch_execz .LBB0_17
; %bb.16:
	v_add_f16_e32 v6, v18, v24
	v_add_f16_e32 v29, v19, v25
	;; [unrolled: 1-line block ×3, first 2 shown]
	v_sub_f16_e32 v38, v20, v26
	v_sub_f16_e32 v41, v21, v27
	;; [unrolled: 1-line block ×3, first 2 shown]
	v_add_f16_e32 v40, v29, v6
	v_sub_f16_e32 v39, v5, v6
	v_sub_f16_e32 v44, v29, v5
	;; [unrolled: 1-line block ×4, first 2 shown]
	v_add_f16_e32 v5, v40, v5
	v_sub_f16_e32 v40, v38, v41
	v_mul_f16_e32 v39, 0x2b26, v39
	v_mul_f16_e32 v46, 0x3a52, v44
	v_sub_f16_e32 v47, v42, v38
	v_add_f16_e32 v30, v30, v5
	v_add_f16_e32 v38, v41, v38
	v_mul_f16_e32 v29, 0xbb00, v45
	v_mul_f16_e32 v40, 0x3846, v40
	v_fmamk_f16 v44, v44, 0x3a52, v39
	v_fmamk_f16 v5, v5, 0xbcab, v30
	v_add_f16_e32 v38, v42, v38
	v_fma_f16 v41, v6, 0xb9e0, -v46
	v_fma_f16 v29, v47, 0x3574, -v29
	;; [unrolled: 1-line block ×4, first 2 shown]
	v_fmamk_f16 v45, v47, 0xb574, v40
	v_add_f16_e32 v39, v41, v5
	v_fmac_f16_e32 v29, 0xb70e, v38
	v_fmac_f16_e32 v42, 0xb70e, v38
	v_add_f16_e32 v6, v6, v5
	v_add_f16_e32 v5, v44, v5
	v_fmac_f16_e32 v45, 0xb70e, v38
	v_sub_f16_e32 v38, v39, v29
	v_add_f16_e32 v29, v29, v39
	v_add_f16_e32 v40, v42, v6
	v_sub_f16_e32 v6, v6, v42
	v_add_f16_e32 v41, v45, v5
	v_sub_f16_e32 v5, v5, v45
	s_delay_alu instid0(VALU_DEP_4) | instskip(NEXT) | instid1(VALU_DEP_4)
	v_pack_b32_f16 v40, v40, v38
	v_pack_b32_f16 v39, v29, v6
	s_delay_alu instid0(VALU_DEP_4)
	v_pack_b32_f16 v38, v30, v41
	ds_store_b96 v43, v[38:40] offset:1274
	ds_store_b16 v43, v5 offset:1286
.LBB0_17:
	s_wait_alu 0xfffe
	s_or_b32 exec_lo, exec_lo, s1
	v_add_f16_e32 v5, v32, v37
	v_add_f16_e32 v6, v33, v36
	v_sub_f16_e32 v9, v9, v16
	v_add_f16_e32 v16, v34, v35
	v_sub_f16_e32 v10, v10, v14
	v_sub_f16_e32 v12, v13, v12
	v_add_f16_e32 v13, v6, v5
	v_sub_f16_e32 v14, v6, v5
	v_sub_f16_e32 v5, v5, v16
	;; [unrolled: 1-line block ×3, first 2 shown]
	v_add_f16_e32 v29, v12, v10
	v_add_f16_e32 v13, v16, v13
	v_sub_f16_e32 v16, v12, v10
	v_sub_f16_e32 v12, v9, v12
	;; [unrolled: 1-line block ×3, first 2 shown]
	v_add_f16_e32 v9, v29, v9
	v_add_f16_e32 v31, v13, v31
	v_mul_f16_e32 v5, 0x3a52, v5
	v_mul_f16_e32 v29, 0x2b26, v6
	;; [unrolled: 1-line block ×4, first 2 shown]
	v_fmamk_f16 v13, v13, 0xbcab, v31
	v_fmamk_f16 v35, v6, 0x2b26, v5
	v_fma_f16 v6, v14, 0x39e0, -v29
	v_fma_f16 v5, v14, 0xb9e0, -v5
	v_fmamk_f16 v14, v12, 0xb574, v16
	v_fma_f16 v10, v10, 0xbb00, -v16
	v_mul_i32_i24_e32 v29, -12, v8
	v_add_f16_e32 v16, v6, v13
	v_lshlrev_b32_e32 v6, 1, v0
	v_lshlrev_b32_e32 v0, 1, v8
	v_add_f16_e32 v44, v5, v13
	v_fma_f16 v12, v12, 0x3574, -v30
	global_wb scope:SCOPE_SE
	s_wait_dscnt 0x0
	s_wait_kmcnt 0x0
	s_barrier_signal -1
	v_add3_u32 v5, 0, v6, v0
	v_add3_u32 v0, v11, v29, v6
	s_barrier_wait -1
	global_inv scope:SCOPE_SE
	ds_load_u16 v11, v5
	ds_load_u16 v42, v0 offset:182
	ds_load_u16 v38, v0 offset:364
	;; [unrolled: 1-line block ×12, first 2 shown]
	v_fmac_f16_e32 v10, 0xb70e, v9
	v_fmac_f16_e32 v12, 0xb70e, v9
	v_add_f16_e32 v13, v35, v13
	v_fmac_f16_e32 v14, 0xb70e, v9
	global_wb scope:SCOPE_SE
	s_wait_dscnt 0x0
	v_sub_f16_e32 v35, v16, v10
	v_sub_f16_e32 v9, v44, v12
	v_add_f16_e32 v12, v12, v44
	v_add_f16_e32 v10, v10, v16
	v_sub_f16_e32 v16, v13, v14
	v_add_f16_e32 v44, v14, v13
	s_barrier_signal -1
	v_pack_b32_f16 v14, v35, v12
	v_pack_b32_f16 v13, v9, v10
	;; [unrolled: 1-line block ×3, first 2 shown]
	s_barrier_wait -1
	global_inv scope:SCOPE_SE
	ds_store_b96 v43, v[12:14]
	ds_store_b16 v43, v44 offset:12
	s_and_saveexec_b32 s1, s0
	s_cbranch_execz .LBB0_19
; %bb.18:
	v_add_f16_e32 v9, v22, v28
	v_add_f16_e32 v10, v21, v27
	v_sub_f16_e32 v12, v19, v25
	v_add_f16_e32 v13, v20, v26
	v_sub_f16_e32 v14, v18, v24
	v_sub_f16_e32 v16, v17, v23
	v_add_f16_e32 v17, v9, v10
	v_sub_f16_e32 v18, v10, v9
	v_sub_f16_e32 v9, v9, v13
	;; [unrolled: 1-line block ×3, first 2 shown]
	v_add_f16_e32 v19, v14, v16
	v_add_f16_e32 v13, v17, v13
	v_sub_f16_e32 v17, v16, v14
	v_sub_f16_e32 v14, v14, v12
	;; [unrolled: 1-line block ×3, first 2 shown]
	v_add_f16_e32 v12, v12, v19
	v_add_f16_e32 v15, v15, v13
	v_mul_f16_e32 v10, 0x2b26, v10
	v_mul_f16_e32 v19, 0x3a52, v9
	;; [unrolled: 1-line block ×4, first 2 shown]
	v_fmamk_f16 v13, v13, 0xbcab, v15
	v_fmamk_f16 v9, v9, 0x3a52, v10
	v_fma_f16 v10, v18, 0x39e0, -v10
	v_fma_f16 v18, v18, 0xb9e0, -v19
	;; [unrolled: 1-line block ×4, first 2 shown]
	v_fmamk_f16 v16, v16, 0xb574, v17
	v_add_f16_e32 v10, v10, v13
	v_add_f16_e32 v17, v18, v13
	v_fmac_f16_e32 v19, 0xb70e, v12
	v_fmac_f16_e32 v14, 0xb70e, v12
	v_add_nc_u32_e32 v18, 0x5b, v8
	v_add_f16_e32 v9, v9, v13
	v_fmac_f16_e32 v16, 0xb70e, v12
	v_sub_f16_e32 v12, v17, v19
	v_sub_f16_e32 v13, v10, v14
	v_mul_u32_u24_e32 v18, 14, v18
	v_add_f16_e32 v17, v17, v19
	v_add_f16_e32 v10, v10, v14
	v_sub_f16_e32 v19, v9, v16
	v_add_f16_e32 v9, v9, v16
	v_add3_u32 v18, 0, v18, v6
	v_pack_b32_f16 v14, v13, v17
	v_pack_b32_f16 v13, v12, v10
	;; [unrolled: 1-line block ×3, first 2 shown]
	ds_store_b96 v18, v[12:14]
	ds_store_b16 v18, v9 offset:12
.LBB0_19:
	s_wait_alu 0xfffe
	s_or_b32 exec_lo, exec_lo, s1
	v_and_b32_e32 v9, 0xff, v8
	global_wb scope:SCOPE_SE
	s_wait_dscnt 0x0
	s_barrier_signal -1
	s_barrier_wait -1
	global_inv scope:SCOPE_SE
	v_mul_lo_u16 v9, v9, 37
	s_delay_alu instid0(VALU_DEP_1) | instskip(NEXT) | instid1(VALU_DEP_1)
	v_lshrrev_b16 v9, 8, v9
	v_sub_nc_u16 v10, v8, v9
	s_delay_alu instid0(VALU_DEP_1) | instskip(NEXT) | instid1(VALU_DEP_1)
	v_lshrrev_b16 v10, 1, v10
	v_and_b32_e32 v10, 0x7f, v10
	s_delay_alu instid0(VALU_DEP_1) | instskip(NEXT) | instid1(VALU_DEP_1)
	v_add_nc_u16 v9, v10, v9
	v_lshrrev_b16 v10, 2, v9
	s_delay_alu instid0(VALU_DEP_1) | instskip(SKIP_1) | instid1(VALU_DEP_2)
	v_mul_lo_u16 v9, v10, 7
	v_and_b32_e32 v10, 0xffff, v10
	v_sub_nc_u16 v9, v8, v9
	s_delay_alu instid0(VALU_DEP_2) | instskip(NEXT) | instid1(VALU_DEP_2)
	v_mad_u32_u24 v10, 0xb6, v10, 0
	v_and_b32_e32 v9, 0xff, v9
	s_delay_alu instid0(VALU_DEP_1) | instskip(SKIP_1) | instid1(VALU_DEP_2)
	v_mul_u32_u24_e32 v12, 12, v9
	v_lshlrev_b32_e32 v9, 1, v9
	v_lshlrev_b32_e32 v12, 2, v12
	s_clause 0x2
	global_load_b128 v[17:20], v12, s[8:9]
	global_load_b128 v[43:46], v12, s[8:9] offset:16
	global_load_b128 v[47:50], v12, s[8:9] offset:32
	ds_load_u16 v24, v5
	ds_load_u16 v23, v0 offset:182
	ds_load_u16 v25, v0 offset:364
	;; [unrolled: 1-line block ×12, first 2 shown]
	global_wb scope:SCOPE_SE
	s_wait_loadcnt_dscnt 0x0
	s_barrier_signal -1
	s_barrier_wait -1
	global_inv scope:SCOPE_SE
	v_lshrrev_b32_e32 v12, 16, v17
	v_lshrrev_b32_e32 v13, 16, v18
	;; [unrolled: 1-line block ×8, first 2 shown]
	v_mul_f16_e32 v66, v23, v12
	v_mul_f16_e32 v67, v42, v12
	v_lshrrev_b32_e32 v62, 16, v47
	v_lshrrev_b32_e32 v63, 16, v48
	v_mul_f16_e32 v35, v25, v13
	v_mul_f16_e32 v68, v38, v13
	;; [unrolled: 1-line block ×12, first 2 shown]
	v_fmac_f16_e32 v66, v42, v17
	v_fma_f16 v67, v23, v17, -v67
	v_lshrrev_b32_e32 v15, 16, v20
	v_lshrrev_b32_e32 v65, 16, v50
	v_mul_f16_e32 v60, v40, v60
	v_mul_f16_e32 v61, v39, v61
	;; [unrolled: 1-line block ×5, first 2 shown]
	v_fmac_f16_e32 v35, v38, v18
	v_fma_f16 v38, v25, v18, -v68
	v_fmac_f16_e32 v21, v40, v45
	v_fmac_f16_e32 v16, v39, v46
	;; [unrolled: 1-line block ×3, first 2 shown]
	v_fma_f16 v18, v58, v49, -v64
	v_add_f16_e32 v39, v11, v66
	v_add_f16_e32 v40, v24, v67
	v_mul_f16_e32 v28, v51, v15
	v_mul_f16_e32 v70, v30, v15
	;; [unrolled: 1-line block ×5, first 2 shown]
	v_fmac_f16_e32 v31, v32, v19
	v_fma_f16 v32, v26, v19, -v69
	v_fma_f16 v25, v54, v45, -v60
	;; [unrolled: 1-line block ×3, first 2 shown]
	v_fmac_f16_e32 v12, v37, v47
	v_fmac_f16_e32 v13, v36, v48
	v_fma_f16 v19, v57, v48, -v63
	v_add_f16_e32 v36, v35, v14
	v_add_f16_e32 v45, v38, v18
	v_sub_f16_e32 v37, v35, v14
	v_sub_f16_e32 v46, v38, v18
	v_add_f16_e32 v35, v39, v35
	v_add_f16_e32 v38, v40, v38
	v_fmac_f16_e32 v28, v30, v20
	v_fma_f16 v30, v51, v20, -v70
	v_fmac_f16_e32 v22, v41, v44
	v_fma_f16 v26, v53, v44, -v72
	v_fma_f16 v20, v56, v47, -v62
	;; [unrolled: 1-line block ×3, first 2 shown]
	v_add_f16_e32 v44, v31, v13
	v_add_f16_e32 v47, v32, v19
	v_sub_f16_e32 v41, v31, v13
	v_sub_f16_e32 v48, v32, v19
	v_add_f16_e32 v31, v35, v31
	v_add_f16_e32 v32, v38, v32
	v_fmac_f16_e32 v27, v29, v43
	v_fma_f16 v29, v52, v43, -v71
	v_fmac_f16_e32 v15, v34, v50
	v_sub_f16_e32 v43, v67, v17
	v_sub_f16_e32 v51, v30, v20
	v_add_f16_e32 v49, v28, v12
	v_add_f16_e32 v52, v30, v20
	v_sub_f16_e32 v50, v28, v12
	v_add_f16_e32 v28, v31, v28
	v_add_f16_e32 v30, v32, v30
	;; [unrolled: 1-line block ×5, first 2 shown]
	v_sub_f16_e32 v56, v27, v16
	v_mul_f16_e32 v39, 0xb770, v43
	v_add_f16_e32 v27, v28, v27
	v_add_f16_e32 v28, v30, v29
	v_sub_f16_e32 v34, v66, v15
	v_add_f16_e32 v57, v22, v21
	v_sub_f16_e32 v58, v26, v25
	;; [unrolled: 2-line block ×3, first 2 shown]
	v_mul_f16_e32 v40, 0x3b15, v42
	v_mul_f16_e32 v61, 0xba95, v43
	;; [unrolled: 1-line block ×12, first 2 shown]
	v_fmamk_f16 v35, v33, 0x3b15, v39
	v_fma_f16 v39, v33, 0x3b15, -v39
	v_add_f16_e32 v22, v27, v22
	v_add_f16_e32 v26, v28, v26
	v_mul_f16_e32 v70, 0x388b, v45
	v_mul_f16_e32 v71, 0xbb7b, v46
	;; [unrolled: 1-line block ×12, first 2 shown]
	v_fmamk_f16 v38, v34, 0x3770, v40
	v_fmac_f16_e32 v40, 0xb770, v34
	v_fmamk_f16 v113, v33, 0x388b, v61
	v_fmamk_f16 v114, v34, 0x3a95, v62
	v_fma_f16 v61, v33, 0x388b, -v61
	v_fmac_f16_e32 v62, 0xba95, v34
	v_fmamk_f16 v115, v33, 0x2fb7, v63
	v_fmamk_f16 v116, v34, 0x3bf1, v64
	v_fma_f16 v63, v33, 0x2fb7, -v63
	;; [unrolled: 4-line block ×5, first 2 shown]
	v_fmac_f16_e32 v42, 0xb3a8, v34
	v_fmamk_f16 v34, v36, 0x388b, v69
	v_fma_f16 v69, v36, 0x388b, -v69
	v_add_f16_e32 v31, v11, v35
	v_add_f16_e32 v32, v11, v39
	;; [unrolled: 1-line block ×4, first 2 shown]
	v_sub_f16_e32 v53, v29, v23
	v_add_f16_e32 v55, v29, v23
	v_mul_f16_e32 v80, 0x2fb7, v47
	v_mul_f16_e32 v81, 0xb3a8, v48
	;; [unrolled: 1-line block ×12, first 2 shown]
	v_fmamk_f16 v43, v37, 0x3a95, v70
	v_fmac_f16_e32 v70, 0xba95, v37
	v_fmamk_f16 v123, v36, 0xb5ac, v71
	v_fmamk_f16 v124, v37, 0x3b7b, v72
	v_fma_f16 v71, v36, 0xb5ac, -v71
	v_fmac_f16_e32 v72, 0xbb7b, v37
	v_fmamk_f16 v125, v36, 0xbbc4, v73
	v_fmamk_f16 v126, v37, 0x33a8, v74
	v_fma_f16 v73, v36, 0xbbc4, -v73
	v_fmac_f16_e32 v74, 0xb3a8, v37
	v_fmamk_f16 v127, v36, 0xb9fd, v75
	v_fma_f16 v128, 0xb94e, v37, v76
	v_fma_f16 v75, v36, 0xb9fd, -v75
	v_fmac_f16_e32 v76, 0x394e, v37
	v_fma_f16 v129, 0x2fb7, v36, v77
	v_fma_f16 v130, 0xbbf1, v37, v78
	v_fma_f16 v77, v36, 0x2fb7, -v77
	v_fmac_f16_e32 v78, 0x3bf1, v37
	v_fma_f16 v131, 0x3b15, v36, v46
	v_fma_f16 v132, 0xb770, v37, v45
	v_fma_f16 v36, v36, 0x3b15, -v46
	v_fmac_f16_e32 v45, 0x3770, v37
	v_fmamk_f16 v37, v44, 0x2fb7, v79
	v_fma_f16 v46, v44, 0x2fb7, -v79
	v_add_f16_e32 v35, v11, v113
	v_add_f16_e32 v39, v11, v61
	v_add_f16_e32 v61, v11, v115
	v_add_f16_e32 v63, v11, v63
	v_add_f16_e32 v113, v11, v117
	v_add_f16_e32 v65, v11, v65
	v_add_f16_e32 v115, v11, v119
	v_add_f16_e32 v67, v11, v67
	v_add_f16_e32 v117, v11, v121
	v_add_f16_e32 v11, v11, v33
	v_add_f16_e32 v33, v24, v38
	v_add_f16_e32 v38, v24, v40
	v_add_f16_e32 v40, v24, v114
	v_add_f16_e32 v62, v24, v62
	v_add_f16_e32 v119, v24, v122
	v_add_f16_e32 v29, v34, v31
	v_add_f16_e32 v31, v69, v32
	v_add_f16_e32 v16, v21, v16
	v_add_f16_e32 v21, v22, v23
	v_mul_f16_e32 v90, 0x394e, v51
	v_mul_f16_e32 v91, 0x3770, v51
	;; [unrolled: 1-line block ×12, first 2 shown]
	v_fmamk_f16 v79, v44, 0xbbc4, v81
	v_fma_f16 v81, v44, 0xbbc4, -v81
	v_fma_f16 v133, 0xb5ac, v44, v82
	v_fma_f16 v82, v44, 0xb5ac, -v82
	v_fma_f16 v134, 0x3b15, v44, v83
	;; [unrolled: 2-line block ×4, first 2 shown]
	v_fma_f16 v44, v44, 0xb9fd, -v48
	v_fmamk_f16 v48, v41, 0x3bf1, v80
	v_fmac_f16_e32 v80, 0xbbf1, v41
	v_fma_f16 v137, 0x33a8, v41, v85
	v_fmac_f16_e32 v85, 0xb3a8, v41
	v_fma_f16 v138, 0xbb7b, v41, v86
	;; [unrolled: 2-line block ×5, first 2 shown]
	v_fmac_f16_e32 v47, 0xb94e, v41
	v_fmamk_f16 v41, v49, 0xb5ac, v89
	v_fma_f16 v89, v49, 0xb5ac, -v89
	v_add_f16_e32 v114, v24, v116
	v_add_f16_e32 v64, v24, v64
	;; [unrolled: 1-line block ×13, first 2 shown]
	v_add_f16_e64 v70, v132, v119
	v_add_f16_e32 v29, v37, v29
	v_add_f16_e32 v31, v46, v31
	;; [unrolled: 1-line block ×4, first 2 shown]
	v_mul_f16_e32 v100, 0x3bf1, v53
	v_mul_f16_e32 v101, 0xba95, v53
	;; [unrolled: 1-line block ×12, first 2 shown]
	v_fma_f16 v142, 0xb9fd, v49, v90
	v_fma_f16 v90, v49, 0xb9fd, -v90
	v_fma_f16 v143, 0x3b15, v49, v91
	v_fma_f16 v91, v49, 0x3b15, -v91
	v_fma_f16 v144, 0x2fb7, v49, v92
	v_fma_f16 v92, v49, 0x2fb7, -v92
	v_fma_f16 v145, 0xbbc4, v49, v93
	v_fma_f16 v93, v49, 0xbbc4, -v93
	v_fma_f16 v146, 0x388b, v49, v51
	v_fma_f16 v49, v49, 0x388b, -v51
	v_fmamk_f16 v51, v50, 0x3b7b, v94
	v_fmac_f16_e32 v94, 0xbb7b, v50
	v_fma_f16 v147, 0xb94e, v50, v95
	v_fmac_f16_e32 v95, 0x394e, v50
	v_fma_f16 v148, 0xb770, v50, v96
	;; [unrolled: 2-line block ×5, first 2 shown]
	v_fmac_f16_e32 v52, 0x3a95, v50
	v_fmamk_f16 v50, v54, 0xb9fd, v99
	v_fma_f16 v99, v54, 0xb9fd, -v99
	v_add_f16_e32 v39, v125, v61
	v_add_f16_e32 v40, v126, v114
	;; [unrolled: 1-line block ×10, first 2 shown]
	v_add_f16_e64 v34, v137, v34
	v_add_f16_e32 v35, v81, v35
	v_add_f16_e32 v36, v85, v38
	v_add_f16_e64 v27, v141, v70
	v_add_f16_e32 v25, v41, v29
	v_add_f16_e32 v28, v89, v31
	;; [unrolled: 1-line block ×4, first 2 shown]
	v_mul_f16_e32 v110, 0xbbc4, v59
	v_mul_f16_e32 v111, 0x3770, v58
	;; [unrolled: 1-line block ×3, first 2 shown]
	v_fma_f16 v152, 0x2fb7, v54, v100
	v_fma_f16 v100, v54, 0x2fb7, -v100
	v_fma_f16 v153, 0x388b, v54, v101
	v_fma_f16 v101, v54, 0x388b, -v101
	;; [unrolled: 2-line block ×5, first 2 shown]
	v_fmamk_f16 v54, v56, 0x394e, v104
	v_fmac_f16_e32 v104, 0xb94e, v56
	v_fma_f16 v157, 0xbbf1, v56, v105
	v_fmac_f16_e32 v105, 0x3bf1, v56
	v_fma_f16 v158, 0x3a95, v56, v106
	v_fmac_f16_e32 v106, 0xba95, v56
	v_fma_f16 v159, 0xb3a8, v56, v107
	v_fmac_f16_e32 v107, 0x33a8, v56
	v_fma_f16 v160, 0xb770, v56, v108
	v_fmac_f16_e32 v108, 0x3770, v56
	v_fma_f16 v161, 0x3b7b, v56, v55
	v_fmac_f16_e32 v55, 0xbb7b, v56
	v_fmamk_f16 v56, v57, 0xbbc4, v109
	v_fma_f16 v109, v57, 0xbbc4, -v109
	v_add_f16_e64 v62, v128, v116
	v_add_f16_e32 v63, v75, v65
	v_add_f16_e64 v37, v133, v39
	v_add_f16_e64 v38, v138, v40
	v_add_f16_e32 v39, v82, v42
	v_add_f16_e32 v40, v86, v43
	v_add_f16_e64 v42, v134, v61
	v_add_f16_e32 v24, v47, v24
	v_add_f16_e32 v26, v51, v30
	;; [unrolled: 1-line block ×3, first 2 shown]
	v_add_f16_e64 v30, v142, v33
	v_add_f16_e64 v31, v147, v34
	v_add_f16_e32 v32, v90, v35
	v_add_f16_e32 v33, v95, v36
	v_add_f16_e64 v27, v151, v27
	v_add_f16_e32 v22, v50, v25
	v_add_f16_e32 v25, v99, v28
	;; [unrolled: 1-line block ×4, first 2 shown]
	v_fma_f16 v162, 0x33a8, v60, v110
	v_fmac_f16_e32 v110, 0xb3a8, v60
	v_fma_f16 v163, 0x3b15, v57, v111
	v_fma_f16 v164, 0xb770, v60, v112
	v_add_f16_e32 v64, v76, v66
	v_add_f16_e64 v65, v129, v115
	v_add_f16_e64 v43, v139, v62
	v_add_f16_e32 v45, v83, v63
	v_add_f16_e64 v34, v143, v37
	v_add_f16_e64 v35, v148, v38
	v_add_f16_e32 v36, v91, v39
	v_add_f16_e32 v37, v96, v40
	v_add_f16_e64 v38, v144, v42
	v_add_f16_e32 v24, v52, v24
	v_add_f16_e32 v23, v54, v26
	;; [unrolled: 1-line block ×3, first 2 shown]
	v_add_f16_e64 v28, v152, v30
	v_add_f16_e64 v29, v157, v31
	v_add_f16_e32 v30, v100, v32
	v_add_f16_e32 v31, v105, v33
	v_add_f16_e64 v21, v161, v27
	v_add_f16_e32 v14, v109, v25
	v_add_f16_e32 v12, v12, v15
	;; [unrolled: 1-line block ×3, first 2 shown]
	v_mul_f16_e32 v13, 0xb94e, v58
	v_fma_f16 v15, v57, 0x3b15, -v111
	v_fmac_f16_e32 v112, 0x3770, v60
	v_mul_f16_e32 v17, 0xb9fd, v59
	v_mul_f16_e32 v27, 0x3a95, v58
	v_add_f16_e32 v46, v87, v64
	v_add_f16_e64 v48, v135, v65
	v_add_f16_e64 v39, v149, v43
	v_add_f16_e32 v40, v92, v45
	v_add_f16_e64 v32, v153, v34
	v_add_f16_e64 v33, v158, v35
	v_add_f16_e32 v34, v101, v36
	v_add_f16_e32 v35, v106, v37
	v_add_f16_e64 v36, v154, v38
	v_add_f16_e32 v16, v55, v24
	v_add_f16_e32 v19, v56, v22
	v_add_f16_e64 v22, v162, v23
	v_add_f16_e32 v24, v110, v26
	v_add_f16_e64 v18, v163, v28
	v_add_f16_e64 v26, v164, v29
	v_fmamk_f16 v23, v57, 0xb9fd, v13
	v_add_f16_e32 v15, v15, v30
	v_add_f16_e32 v28, v112, v31
	v_fmamk_f16 v29, v60, 0x394e, v17
	v_fmac_f16_e32 v17, 0xb94e, v60
	v_fmamk_f16 v30, v57, 0x388b, v27
	v_mul_f16_e32 v31, 0x388b, v59
	v_add_f16_e32 v67, v77, v67
	v_add_f16_e64 v69, v131, v117
	v_add_f16_e32 v11, v44, v11
	v_add_f16_e32 v41, v97, v46
	v_add_f16_e64 v42, v145, v48
	v_add_f16_e64 v37, v159, v39
	v_add_f16_e32 v38, v102, v40
	v_add_f16_e32 v23, v23, v32
	;; [unrolled: 1-line block ×5, first 2 shown]
	v_mul_f16_e32 v30, 0xbb7b, v58
	v_fmamk_f16 v33, v60, 0xba95, v31
	v_fma_f16 v27, v57, 0x388b, -v27
	v_add_f16_e32 v62, v84, v67
	v_add_f16_e64 v64, v136, v69
	v_add_f16_e32 v11, v49, v11
	v_add_f16_e32 v39, v107, v41
	v_add_f16_e64 v40, v155, v42
	v_fmac_f16_e32 v31, 0x3a95, v60
	v_fmamk_f16 v35, v57, 0xb5ac, v30
	v_add_f16_e32 v33, v33, v37
	v_add_f16_e32 v27, v27, v38
	v_mul_f16_e32 v37, 0x3bf1, v58
	v_mul_f16_e32 v38, 0x2fb7, v59
	v_add_f16_e32 v44, v93, v62
	v_add_f16_e64 v46, v146, v64
	v_add_f16_e32 v11, v53, v11
	v_add_f16_e32 v31, v31, v39
	;; [unrolled: 1-line block ×3, first 2 shown]
	v_fmamk_f16 v39, v57, 0x2fb7, v37
	v_fmamk_f16 v40, v60, 0xbbf1, v38
	v_fma_f16 v37, v57, 0x2fb7, -v37
	v_fmac_f16_e32 v38, 0x3bf1, v60
	v_fma_f16 v13, v57, 0xb9fd, -v13
	v_add_f16_e32 v42, v103, v44
	v_add_f16_e64 v20, v156, v46
	v_fma_f16 v30, v57, 0xb5ac, -v30
	v_add_f16_e32 v11, v37, v11
	v_add_f16_e32 v37, v38, v16
	v_add3_u32 v38, v10, v9, v6
	v_add_f16_e32 v13, v13, v34
	v_add_f16_e32 v30, v30, v42
	;; [unrolled: 1-line block ×4, first 2 shown]
	ds_store_b16 v38, v12
	ds_store_b16 v38, v19 offset:14
	ds_store_b16 v38, v18 offset:28
	;; [unrolled: 1-line block ×12, first 2 shown]
	global_wb scope:SCOPE_SE
	s_wait_dscnt 0x0
	s_barrier_signal -1
	s_barrier_wait -1
	global_inv scope:SCOPE_SE
	ds_load_u16 v6, v5
	ds_load_u16 v19, v0 offset:182
	ds_load_u16 v17, v0 offset:364
	;; [unrolled: 1-line block ×12, first 2 shown]
	v_add_f16_e64 v66, v130, v118
	v_add_f16_e32 v68, v78, v68
	v_mul_f16_e32 v34, 0xb5ac, v59
	global_wb scope:SCOPE_SE
	s_wait_dscnt 0x0
	s_barrier_signal -1
	v_add_f16_e64 v61, v140, v66
	v_add_f16_e32 v63, v88, v68
	v_fmamk_f16 v36, v60, 0x3b7b, v34
	v_fmac_f16_e32 v34, 0xbb7b, v60
	s_barrier_wait -1
	v_add_f16_e64 v43, v150, v61
	v_add_f16_e32 v45, v98, v63
	global_inv scope:SCOPE_SE
	v_add_f16_e64 v41, v160, v43
	v_add_f16_e32 v43, v108, v45
	s_delay_alu instid0(VALU_DEP_2) | instskip(NEXT) | instid1(VALU_DEP_2)
	v_add_f16_e32 v36, v36, v41
	v_add_f16_e32 v34, v34, v43
	ds_store_b16 v38, v25
	ds_store_b16 v38, v22 offset:14
	ds_store_b16 v38, v26 offset:28
	ds_store_b16 v38, v29 offset:42
	ds_store_b16 v38, v33 offset:56
	ds_store_b16 v38, v36 offset:70
	ds_store_b16 v38, v39 offset:84
	ds_store_b16 v38, v37 offset:98
	ds_store_b16 v38, v34 offset:112
	ds_store_b16 v38, v31 offset:126
	ds_store_b16 v38, v32 offset:140
	ds_store_b16 v38, v28 offset:154
	ds_store_b16 v38, v24 offset:168
	global_wb scope:SCOPE_SE
	s_wait_dscnt 0x0
	s_barrier_signal -1
	s_barrier_wait -1
	global_inv scope:SCOPE_SE
	s_and_saveexec_b32 s0, vcc_lo
	s_cbranch_execz .LBB0_21
; %bb.20:
	v_mul_u32_u24_e32 v8, 12, v8
	v_mul_lo_u32 v12, s2, v4
	s_delay_alu instid0(VALU_DEP_2)
	v_lshlrev_b32_e32 v8, 2, v8
	s_clause 0x2
	global_load_b128 v[34:37], v8, s[8:9] offset:336
	global_load_b128 v[38:41], v8, s[8:9] offset:368
	;; [unrolled: 1-line block ×3, first 2 shown]
	ds_load_u16 v47, v0 offset:546
	ds_load_u16 v48, v0 offset:728
	;; [unrolled: 1-line block ×7, first 2 shown]
	ds_load_u16 v5, v5
	ds_load_u16 v52, v0 offset:2184
	ds_load_u16 v53, v0 offset:2002
	;; [unrolled: 1-line block ×5, first 2 shown]
	v_mul_lo_u32 v8, s3, v3
	v_mad_co_u64_u32 v[3:4], null, s2, v3, 0
	s_delay_alu instid0(VALU_DEP_1) | instskip(NEXT) | instid1(VALU_DEP_1)
	v_add3_u32 v4, v4, v12, v8
	v_lshlrev_b64_e32 v[3:4], 2, v[3:4]
	s_wait_loadcnt 0x2
	v_lshrrev_b32_e32 v8, 16, v34
	v_mul_f16_e32 v33, v19, v34
	s_wait_loadcnt 0x1
	v_lshrrev_b32_e32 v59, 16, v38
	v_lshrrev_b32_e32 v62, 16, v41
	v_mul_f16_e32 v12, v27, v41
	v_lshrrev_b32_e32 v56, 16, v35
	v_lshrrev_b32_e32 v58, 16, v37
	;; [unrolled: 1-line block ×4, first 2 shown]
	v_mul_f16_e32 v31, v17, v35
	v_mul_f16_e32 v14, v23, v40
	;; [unrolled: 1-line block ×3, first 2 shown]
	s_wait_loadcnt 0x0
	v_lshrrev_b32_e32 v64, 16, v44
	s_wait_dscnt 0x6
	v_fmac_f16_e32 v33, v42, v8
	s_wait_dscnt 0x4
	v_fmac_f16_e32 v12, v52, v62
	v_mul_f16_e32 v27, v27, v62
	v_mul_f16_e32 v8, v19, v8
	;; [unrolled: 1-line block ×3, first 2 shown]
	v_lshrrev_b32_e32 v57, 16, v36
	v_mul_f16_e32 v30, v16, v36
	v_mul_f16_e32 v20, v21, v39
	;; [unrolled: 1-line block ×4, first 2 shown]
	v_fmac_f16_e32 v31, v32, v56
	s_wait_dscnt 0x3
	v_fmac_f16_e32 v14, v53, v61
	v_mul_f16_e32 v61, v23, v61
	v_mul_f16_e32 v17, v17, v56
	;; [unrolled: 1-line block ×5, first 2 shown]
	v_sub_f16_e32 v21, v33, v12
	v_fma_f16 v23, v52, v41, -v27
	v_fma_f16 v42, v42, v34, -v8
	s_wait_dscnt 0x1
	v_fma_f16 v34, v55, v38, -v18
	v_add_f16_e32 v18, v33, v12
	v_add_f16_e32 v33, v6, v33
	v_lshrrev_b32_e32 v66, 16, v46
	v_fmac_f16_e32 v30, v47, v57
	v_fmac_f16_e32 v20, v54, v60
	v_mul_f16_e32 v16, v16, v57
	v_fmac_f16_e32 v26, v50, v64
	v_sub_f16_e32 v19, v31, v14
	v_fma_f16 v41, v32, v35, -v17
	v_fma_f16 v32, v54, v39, -v56
	;; [unrolled: 1-line block ×4, first 2 shown]
	v_add_f16_e32 v17, v31, v14
	v_add_f16_e32 v52, v42, v23
	v_sub_f16_e32 v50, v42, v23
	v_add_f16_e32 v42, v42, v5
	v_add_f16_e32 v31, v33, v31
	v_lshrrev_b32_e32 v63, 16, v43
	v_mul_f16_e32 v29, v11, v43
	v_mul_f16_e32 v24, v15, v46
	v_fmac_f16_e32 v28, v48, v58
	v_fmac_f16_e32 v22, v55, v59
	v_mul_f16_e32 v57, v15, v66
	v_fma_f16 v27, v53, v40, -v61
	v_sub_f16_e32 v15, v30, v20
	v_fma_f16 v40, v47, v36, -v16
	v_add_f16_e32 v16, v30, v20
	v_add_f16_e32 v33, v42, v41
	;; [unrolled: 1-line block ×3, first 2 shown]
	v_lshrrev_b32_e32 v65, 16, v45
	v_mul_f16_e32 v25, v10, v45
	v_fmac_f16_e32 v29, v49, v63
	v_mul_f16_e32 v58, v11, v63
	v_sub_f16_e32 v11, v28, v22
	v_add_f16_e32 v13, v28, v22
	v_add_f16_e32 v31, v33, v40
	;; [unrolled: 1-line block ×3, first 2 shown]
	v_mul_f16_e32 v10, v10, v65
	s_wait_dscnt 0x0
	v_fmac_f16_e32 v24, v0, v66
	v_fmac_f16_e32 v25, v51, v65
	v_fma_f16 v38, v49, v43, -v58
	v_add_f16_e32 v30, v31, v39
	v_add_f16_e32 v28, v28, v29
	v_fma_f16 v36, v51, v45, -v10
	v_mul_f16_e32 v51, 0xba95, v21
	v_mul_f16_e32 v61, 0xbb7b, v21
	v_sub_f16_e32 v8, v29, v24
	v_fma_f16 v35, v0, v46, -v57
	v_sub_f16_e32 v0, v26, v25
	v_add_f16_e32 v10, v29, v24
	v_add_f16_e32 v9, v26, v25
	;; [unrolled: 1-line block ×4, first 2 shown]
	v_mul_f16_e32 v53, 0xbb7b, v19
	v_add_f16_e32 v54, v41, v27
	v_mul_f16_e32 v62, 0x394e, v19
	v_mul_f16_e32 v67, 0xb94e, v21
	v_fmamk_f16 v79, v52, 0x388b, v51
	v_fmamk_f16 v91, v52, 0xb5ac, v61
	v_fma_f16 v61, v52, 0xb5ac, -v61
	v_mul_f16_e32 v127, 0x2fb7, v52
	v_add_f16_e32 v28, v29, v37
	v_add_f16_e32 v25, v26, v25
	;; [unrolled: 1-line block ×3, first 2 shown]
	v_mul_f16_e32 v63, 0x3770, v15
	v_mul_f16_e32 v68, 0x3bf1, v19
	v_fmamk_f16 v80, v54, 0xb5ac, v53
	v_fmamk_f16 v92, v54, 0xb9fd, v62
	;; [unrolled: 1-line block ×3, first 2 shown]
	v_fma_f16 v67, v52, 0xb9fd, -v67
	v_fma_f16 v62, v54, 0xb9fd, -v62
	v_mul_f16_e64 v128, 0xbbc4, v54
	v_add_f16_e32 v79, v5, v79
	v_add_f16_e32 v61, v5, v61
	v_fma_f16 v163, 0x3bf1, v21, v127
	v_add_f16_e32 v26, v28, v36
	v_add_f16_e32 v24, v24, v25
	;; [unrolled: 1-line block ×3, first 2 shown]
	v_sub_f16_e32 v49, v41, v27
	v_mul_f16_e32 v64, 0xbbf1, v11
	v_mul_f16_e32 v69, 0xba95, v15
	;; [unrolled: 1-line block ×3, first 2 shown]
	v_fmamk_f16 v93, v56, 0x3b15, v63
	v_mul_f16_e32 v97, 0xbb7b, v50
	v_fmamk_f16 v104, v54, 0x2fb7, v68
	v_fma_f16 v68, v54, 0x2fb7, -v68
	v_fma_f16 v63, v56, 0x3b15, -v63
	v_mul_f16_e64 v129, 0xb5ac, v56
	v_add_f16_e32 v91, v5, v91
	v_add_f16_e32 v67, v5, v67
	;; [unrolled: 1-line block ×3, first 2 shown]
	v_fma_f16 v80, 0x33a8, v19, v128
	v_add_f16_e32 v61, v61, v62
	v_add_f16_e64 v163, v5, v163
	v_add_f16_e32 v25, v35, v26
	v_add_f16_e32 v22, v22, v24
	;; [unrolled: 1-line block ×3, first 2 shown]
	v_mul_f16_e32 v70, 0x33a8, v11
	v_mul_f16_e32 v74, 0x3770, v19
	v_fmamk_f16 v94, v58, 0x2fb7, v64
	v_mul_f16_e32 v98, 0x394e, v49
	v_fmamk_f16 v105, v56, 0x388b, v69
	v_fmamk_f16 v115, v52, 0xbbc4, v73
	v_fma_f16 v69, v56, 0x388b, -v69
	v_fma_f16 v64, v58, 0x2fb7, -v64
	v_mul_f16_e64 v130, 0x3b15, v58
	v_fma_f16 v145, v18, 0xb5ac, -v97
	v_add_f16_e32 v103, v5, v103
	v_add_f16_e32 v91, v91, v92
	v_fma_f16 v92, 0xbb7b, v15, v129
	v_add_f16_e32 v67, v67, v68
	v_add_f16_e32 v61, v61, v63
	v_add_f16_e64 v80, v163, v80
	v_add_f16_e32 v24, v34, v25
	v_fmac_f16_e32 v127, 0xbbf1, v21
	v_add_f16_e32 v20, v20, v22
	v_add_f16_e32 v44, v37, v36
	v_mul_f16_e32 v71, 0x3770, v8
	v_fmamk_f16 v106, v58, 0xbbc4, v70
	v_fmamk_f16 v116, v54, 0x3b15, v74
	v_fma_f16 v73, v52, 0xbbc4, -v73
	v_fma_f16 v70, v58, 0xbbc4, -v70
	v_mul_f16_e64 v131, 0x388b, v48
	v_fma_f16 v51, v52, 0x388b, -v51
	v_mul_f16_e32 v52, 0x3b15, v52
	v_fma_f16 v146, v17, 0xb9fd, -v98
	v_add_f16_e32 v115, v5, v115
	v_add_f16_e32 v103, v103, v104
	v_fma_f16 v104, 0xb770, v11, v130
	v_add_f16_e64 v145, v6, v145
	v_add_f16_e32 v67, v67, v69
	v_add_f16_e32 v61, v61, v64
	;; [unrolled: 1-line block ×3, first 2 shown]
	v_mul_f16_e64 v133, 0xbbf1, v50
	v_add_f16_e32 v22, v32, v24
	v_add_f16_e32 v24, v5, v127
	v_fmac_f16_e64 v128, 0xb3a8, v19
	v_add_f16_e32 v14, v14, v20
	v_mul_f16_e32 v55, 0xb3a8, v15
	v_mul_f16_e32 v72, 0xbb7b, v0
	;; [unrolled: 1-line block ×3, first 2 shown]
	v_fmamk_f16 v107, v48, 0x3b15, v71
	v_fma_f16 v74, v54, 0x3b15, -v74
	v_fma_f16 v71, v48, 0x3b15, -v71
	v_mul_f16_e64 v132, 0xb9fd, v44
	v_fma_f16 v53, v54, 0xb5ac, -v53
	v_mul_f16_e32 v54, 0x388b, v54
	v_add_f16_e32 v73, v5, v73
	v_add_f16_e32 v115, v115, v116
	v_fma_f16 v116, 0x3a95, v8, v131
	v_add_f16_e64 v145, v145, v146
	v_fma_f16 v146, 0x3770, v21, v52
	v_add_f16_e32 v67, v67, v70
	v_add_f16_e32 v64, v64, v104
	v_fmac_f16_e32 v52, 0xb770, v21
	v_sub_f16_e32 v47, v40, v32
	v_mul_f16_e64 v134, 0xb3a8, v49
	v_add_f16_e32 v22, v27, v22
	v_add_f16_e64 v24, v24, v128
	v_fmac_f16_e64 v129, 0x3b7b, v15
	v_add_f16_e32 v14, v12, v14
	v_fma_f16 v12, v18, 0x2fb7, -v133
	v_mul_f16_e32 v57, 0x394e, v11
	v_mul_f16_e32 v76, 0x3a95, v11
	v_fmamk_f16 v81, v56, 0xbbc4, v55
	v_mul_f16_e32 v85, 0xba95, v50
	v_fmamk_f16 v108, v44, 0xb5ac, v72
	;; [unrolled: 2-line block ×3, first 2 shown]
	v_mul_f16_e32 v121, 0xb3a8, v50
	v_fma_f16 v75, v56, 0xb9fd, -v75
	v_fma_f16 v72, v44, 0xb5ac, -v72
	;; [unrolled: 1-line block ×3, first 2 shown]
	v_mul_f16_e32 v56, 0x2fb7, v56
	v_add_f16_e32 v73, v73, v74
	v_fma_f16 v74, 0x394e, v0, v132
	v_add_f16_e32 v51, v5, v51
	v_add_f16_e32 v103, v103, v105
	v_fmamk_f16 v105, v19, 0x3a95, v54
	v_add_f16_e64 v146, v5, v146
	v_add_f16_e32 v67, v67, v71
	v_add_f16_e32 v64, v64, v116
	v_mul_f16_e32 v41, 0xb770, v50
	v_add_f16_e32 v5, v5, v52
	v_fmac_f16_e32 v54, 0xba95, v19
	v_sub_f16_e32 v46, v39, v34
	v_mul_f16_e64 v135, 0x3b7b, v47
	v_add_f16_e32 v22, v23, v22
	v_add_f16_e64 v21, v24, v129
	v_fmac_f16_e64 v130, 0x3770, v11
	v_add_f16_e32 v12, v6, v12
	v_fma_f16 v23, v17, 0xbbc4, -v134
	v_fmamk_f16 v82, v58, 0xb9fd, v57
	v_fmamk_f16 v118, v58, 0x388b, v76
	v_fma_f16 v76, v58, 0x388b, -v76
	v_fma_f16 v57, v58, 0xb9fd, -v57
	v_fma_f16 v139, v18, 0x388b, -v85
	v_fma_f16 v151, v18, 0xb9fd, -v109
	v_fma_f16 v157, v18, 0xbbc4, -v121
	v_fmac_f16_e32 v121, 0xbbc4, v18
	v_fmac_f16_e32 v109, 0xb9fd, v18
	;; [unrolled: 1-line block ×3, first 2 shown]
	v_fma_f16 v68, 0x2fb7, v18, v133
	v_fmac_f16_e32 v85, 0x388b, v18
	v_add_f16_e32 v67, v67, v72
	v_add_f16_e32 v64, v64, v74
	v_add_f16_e64 v72, v146, v105
	v_fmamk_f16 v74, v15, 0x3bf1, v56
	v_mul_f16_e32 v58, 0xb5ac, v58
	v_fmamk_f16 v33, v18, 0x3b15, v41
	v_mul_f16_e32 v40, 0xba95, v49
	v_add_f16_e32 v5, v5, v54
	v_fmac_f16_e32 v56, 0xbbf1, v15
	v_fma_f16 v18, v18, 0x3b15, -v41
	v_sub_f16_e32 v45, v38, v35
	v_mul_f16_e64 v136, 0x3770, v46
	v_add_f16_e64 v19, v21, v130
	v_fmac_f16_e64 v131, 0xba95, v8
	v_add_f16_e32 v12, v12, v23
	v_fma_f16 v21, v16, 0xb5ac, -v135
	v_add_f16_e64 v139, v6, v139
	v_add_f16_e64 v151, v6, v151
	v_add_f16_e64 v157, v6, v157
	v_add_f16_e32 v121, v6, v121
	v_add_f16_e32 v109, v6, v109
	;; [unrolled: 1-line block ×6, first 2 shown]
	v_fmamk_f16 v74, v11, 0x3b7b, v58
	v_add_f16_e32 v31, v6, v33
	v_add_f16_e32 v5, v5, v56
	v_fmac_f16_e32 v58, 0xbb7b, v11
	v_add_f16_e32 v6, v6, v18
	v_fma_f16 v11, v17, 0x388b, -v40
	v_mul_f16_e32 v59, 0x3bf1, v8
	v_mul_f16_e32 v65, 0x33a8, v8
	;; [unrolled: 1-line block ×10, first 2 shown]
	v_mul_f16_e64 v137, 0xba95, v45
	v_fmamk_f16 v33, v17, 0x388b, v40
	v_mul_f16_e32 v39, 0xbbf1, v47
	v_add_f16_e64 v15, v19, v131
	v_add_f16_e32 v12, v12, v21
	v_fma_f16 v19, v13, 0x3b15, -v136
	v_add_f16_e32 v18, v5, v58
	v_add_f16_e32 v11, v6, v11
	v_mad_co_u64_u32 v[5:6], null, s16, v7, 0
	v_sub_f16_e32 v43, v37, v36
	v_fmamk_f16 v83, v48, 0x2fb7, v59
	v_fmamk_f16 v95, v48, 0xbbc4, v65
	;; [unrolled: 1-line block ×3, first 2 shown]
	v_fma_f16 v77, v48, 0xb5ac, -v77
	v_fma_f16 v65, v48, 0xbbc4, -v65
	v_fma_f16 v59, v48, 0x2fb7, -v59
	v_fma_f16 v140, v17, 0xb5ac, -v86
	v_fma_f16 v141, v16, 0xbbc4, -v87
	v_fma_f16 v147, v16, 0x3b15, -v99
	v_fma_f16 v152, v17, 0x2fb7, -v110
	v_fma_f16 v153, v16, 0x388b, -v111
	v_fma_f16 v158, v17, 0x3b15, -v122
	v_fma_f16 v159, v16, 0xb9fd, -v123
	v_fmac_f16_e32 v122, 0x3b15, v17
	v_fmac_f16_e32 v123, 0xb9fd, v16
	;; [unrolled: 1-line block ×6, first 2 shown]
	v_fma_f16 v62, 0xbbc4, v17, v134
	v_add_f16_e32 v51, v51, v53
	v_fma_f16 v53, 0xb5ac, v16, v135
	v_fmac_f16_e32 v86, 0xb5ac, v17
	v_fmac_f16_e32 v87, 0xbbc4, v16
	v_mul_f16_e32 v48, 0xb9fd, v48
	v_add_f16_e32 v31, v31, v33
	v_fmamk_f16 v33, v16, 0x2fb7, v39
	v_mul_f16_e32 v29, 0xbb7b, v46
	v_mul_f16_e32 v37, 0xbbc4, v44
	v_add_f16_e32 v12, v12, v19
	v_fma_f16 v17, v10, 0x388b, -v137
	v_fma_f16 v16, v16, 0x2fb7, -v39
	v_mul_f16_e32 v60, 0x3770, v0
	v_mul_f16_e32 v66, 0x3a95, v0
	;; [unrolled: 1-line block ×7, first 2 shown]
	v_fmamk_f16 v49, v8, 0x394e, v48
	v_add_f16_e32 v31, v31, v33
	v_fmamk_f16 v28, v13, 0xb5ac, v29
	v_mul_f16_e32 v33, 0xb94e, v45
	v_fmamk_f16 v36, v0, 0x33a8, v37
	v_fmac_f16_e64 v132, 0xb94e, v0
	v_fmac_f16_e32 v48, 0xb94e, v8
	v_add_f16_e32 v8, v12, v17
	v_add_f16_e32 v11, v11, v16
	v_fma_f16 v12, v13, 0xb5ac, -v29
	v_fmac_f16_e32 v37, 0xb3a8, v0
	v_dual_mov_b32 v0, v6 :: v_dual_add_nc_u32 v17, 0x5b, v7
	v_fma_f16 v143, v10, 0x2fb7, -v89
	v_fma_f16 v149, v10, 0xbbc4, -v101
	;; [unrolled: 1-line block ×4, first 2 shown]
	v_fmac_f16_e32 v125, 0xb5ac, v10
	v_fmac_f16_e32 v113, 0x3b15, v10
	;; [unrolled: 1-line block ×3, first 2 shown]
	v_add_f16_e64 v139, v139, v140
	v_fma_f16 v140, 0x388b, v10, v137
	v_fmac_f16_e32 v89, 0x2fb7, v10
	v_add_f16_e32 v26, v31, v28
	v_fmamk_f16 v28, v10, 0xb9fd, v33
	v_add_f16_e32 v16, v18, v48
	v_add_f16_e32 v6, v11, v12
	v_fma_f16 v18, v10, 0xb9fd, -v33
	v_mad_co_u64_u32 v[10:11], null, s17, v7, v[0:1]
	v_mad_co_u64_u32 v[11:12], null, s16, v17, 0
	v_mul_f16_e32 v88, 0x394e, v46
	v_mul_f16_e32 v100, 0xbbf1, v46
	;; [unrolled: 1-line block ×4, first 2 shown]
	v_mul_f16_e64 v138, 0xb94e, v43
	v_fma_f16 v142, v13, 0xb9fd, -v88
	v_fma_f16 v148, v13, 0x2fb7, -v100
	;; [unrolled: 1-line block ×4, first 2 shown]
	v_fmac_f16_e32 v124, 0x388b, v13
	v_fmac_f16_e32 v112, 0xbbc4, v13
	v_fmac_f16_e32 v100, 0x2fb7, v13
	v_add_f16_e32 v79, v79, v81
	v_fma_f16 v81, 0x3b15, v13, v136
	v_fmac_f16_e32 v88, 0xb9fd, v13
	v_fma_f16 v13, v9, 0xb9fd, -v138
	v_lshlrev_b64_e32 v[1:2], 2, v[1:2]
	v_mov_b32_e32 v0, v12
	v_mul_f16_e32 v90, 0x3770, v43
	v_mul_f16_e32 v102, 0x3a95, v43
	v_add_f16_e32 v19, v8, v13
	v_add_f16_e32 v13, v6, v18
	v_dual_mov_b32 v6, v10 :: v_dual_add_nc_u32 v21, 0xb6, v7
	v_add_co_u32 v10, vcc_lo, s6, v3
	s_wait_alu 0xfffd
	v_add_co_ci_u32_e32 v12, vcc_lo, s7, v4, vcc_lo
	v_mad_co_u64_u32 v[3:4], null, s17, v17, v[0:1]
	v_mul_f16_e32 v114, 0xbb7b, v43
	v_mul_f16_e32 v126, 0x3bf1, v43
	;; [unrolled: 1-line block ×3, first 2 shown]
	v_fma_f16 v144, v9, 0x3b15, -v90
	v_fma_f16 v150, v9, 0x388b, -v102
	;; [unrolled: 1-line block ×4, first 2 shown]
	v_fmac_f16_e32 v126, 0x2fb7, v9
	v_fmac_f16_e32 v114, 0xb5ac, v9
	;; [unrolled: 1-line block ×3, first 2 shown]
	v_add_f16_e32 v91, v91, v93
	v_fma_f16 v93, 0xb9fd, v9, v138
	v_fmac_f16_e32 v90, 0x3b15, v9
	v_add_f16_e32 v42, v72, v74
	v_add_f16_e32 v25, v26, v28
	v_fmamk_f16 v26, v9, 0xbbc4, v31
	v_fma_f16 v18, v9, 0xbbc4, -v31
	v_mad_co_u64_u32 v[8:9], null, s16, v21, 0
	v_add_co_u32 v17, vcc_lo, v10, v1
	v_add_nc_u32_e32 v24, 0x111, v7
	s_wait_alu 0xfffd
	v_add_co_ci_u32_e32 v23, vcc_lo, v12, v2, vcc_lo
	v_mov_b32_e32 v12, v3
	v_lshlrev_b64_e32 v[0:1], 2, v[5:6]
	v_add_f16_e32 v30, v42, v49
	v_mad_co_u64_u32 v[3:4], null, s16, v24, 0
	s_delay_alu instid0(VALU_DEP_4) | instskip(SKIP_1) | instid1(VALU_DEP_4)
	v_lshlrev_b64_e32 v[5:6], 2, v[11:12]
	v_mov_b32_e32 v2, v9
	v_add_f16_e32 v28, v30, v36
	v_add_f16_e32 v20, v25, v26
	v_add_co_u32 v0, vcc_lo, v17, v0
	s_wait_alu 0xfffd
	v_add_co_ci_u32_e32 v1, vcc_lo, v23, v1, vcc_lo
	v_mad_co_u64_u32 v[9:10], null, s17, v21, v[2:3]
	v_mov_b32_e32 v2, v4
	v_add_co_u32 v4, vcc_lo, v17, v5
	v_pack_b32_f16 v12, v14, v22
	s_wait_alu 0xfffd
	v_add_co_ci_u32_e32 v5, vcc_lo, v23, v6, vcc_lo
	v_pack_b32_f16 v6, v20, v28
	v_mad_co_u64_u32 v[10:11], null, s17, v24, v[2:3]
	s_clause 0x1
	global_store_b32 v[0:1], v12, off
	global_store_b32 v[4:5], v6, off
	v_add_nc_u32_e32 v12, 0x16c, v7
	v_add_f16_e32 v51, v51, v55
	v_add_f16_e32 v55, v85, v86
	v_add_nc_u32_e32 v14, 0x1c7, v7
	v_add_f16_e32 v62, v68, v62
	v_mad_co_u64_u32 v[5:6], null, s16, v12, 0
	s_delay_alu instid0(VALU_DEP_4)
	v_add_f16_e32 v55, v55, v87
	v_lshlrev_b64_e32 v[0:1], 2, v[8:9]
	v_mov_b32_e32 v4, v10
	v_mad_co_u64_u32 v[8:9], null, s16, v14, 0
	v_add_f16_e32 v53, v62, v53
	v_add_nc_u32_e32 v21, 0x222, v7
	v_add_f16_e32 v51, v51, v57
	v_add_f16_e32 v55, v55, v88
	v_lshlrev_b64_e32 v[2:3], 2, v[3:4]
	v_mov_b32_e32 v4, v6
	v_add_f16_e32 v53, v53, v81
	v_mad_co_u64_u32 v[10:11], null, s16, v21, 0
	v_fmamk_f16 v84, v44, 0x3b15, v60
	v_fma_f16 v60, v44, 0x3b15, -v60
	v_add_f16_e32 v63, v97, v98
	v_add_f16_e32 v51, v51, v59
	;; [unrolled: 1-line block ×3, first 2 shown]
	v_mov_b32_e32 v6, v9
	v_add_f16_e32 v69, v109, v110
	v_add_f16_e32 v18, v13, v18
	v_mad_co_u64_u32 v[12:13], null, s17, v12, v[4:5]
	v_add_f16_e64 v53, v53, v140
	v_add_f16_e32 v63, v63, v99
	v_add_f16_e32 v51, v51, v60
	;; [unrolled: 1-line block ×3, first 2 shown]
	v_mad_co_u64_u32 v[13:14], null, s17, v14, v[6:7]
	v_add_f16_e32 v69, v69, v111
	v_mov_b32_e32 v4, v11
	v_add_f16_e64 v151, v151, v152
	v_add_f16_e32 v73, v73, v75
	v_add_f16_e32 v75, v121, v122
	;; [unrolled: 1-line block ×3, first 2 shown]
	v_add_co_u32 v0, vcc_lo, v17, v0
	v_add_f16_e32 v63, v63, v100
	s_wait_alu 0xfffd
	v_add_co_ci_u32_e32 v1, vcc_lo, v23, v1, vcc_lo
	v_pack_b32_f16 v20, v55, v51
	v_mov_b32_e32 v6, v12
	v_add_f16_e32 v69, v69, v112
	v_add_co_u32 v2, vcc_lo, v17, v2
	v_mad_co_u64_u32 v[11:12], null, s17, v21, v[4:5]
	v_add_nc_u32_e32 v12, 0x27d, v7
	v_add_f16_e32 v68, v79, v82
	v_add_f16_e64 v79, v139, v141
	v_add_f16_e32 v82, v91, v94
	v_add_f16_e64 v85, v145, v147
	v_add_f16_e64 v91, v151, v153
	v_add_f16_e32 v75, v75, v123
	s_wait_alu 0xfffd
	v_add_co_ci_u32_e32 v3, vcc_lo, v23, v3, vcc_lo
	v_pack_b32_f16 v14, v53, v64
	v_mov_b32_e32 v9, v13
	v_fmamk_f16 v96, v44, 0x388b, v66
	v_fma_f16 v66, v44, 0x388b, -v66
	v_add_f16_e32 v61, v61, v65
	v_add_f16_e32 v63, v63, v101
	global_store_b32 v[0:1], v20, off
	v_lshlrev_b64_e32 v[0:1], 2, v[5:6]
	v_add_f16_e32 v69, v69, v113
	v_mad_co_u64_u32 v[4:5], null, s16, v12, 0
	v_add_f16_e32 v73, v73, v76
	v_add_f16_e64 v62, v79, v142
	v_add_f16_e64 v70, v85, v148
	;; [unrolled: 1-line block ×3, first 2 shown]
	v_add_f16_e32 v75, v75, v124
	global_store_b32 v[2:3], v14, off
	v_lshlrev_b64_e32 v[2:3], 2, v[8:9]
	v_add_f16_e32 v61, v61, v66
	v_add_f16_e32 v63, v63, v102
	;; [unrolled: 1-line block ×3, first 2 shown]
	v_add_co_u32 v0, vcc_lo, v17, v0
	v_fmamk_f16 v120, v44, 0x2fb7, v78
	v_fma_f16 v78, v44, 0x2fb7, -v78
	v_add_f16_e32 v73, v73, v77
	v_add_f16_e64 v65, v70, v149
	v_add_f16_e64 v70, v79, v155
	v_add_f16_e32 v75, v75, v125
	s_wait_alu 0xfffd
	v_add_co_ci_u32_e32 v1, vcc_lo, v23, v1, vcc_lo
	v_add_co_u32 v2, vcc_lo, v17, v2
	v_pack_b32_f16 v13, v63, v61
	v_lshlrev_b64_e32 v[8:9], 2, v[10:11]
	v_mad_co_u64_u32 v[5:6], null, s17, v12, v[5:6]
	s_wait_alu 0xfffd
	v_add_co_ci_u32_e32 v3, vcc_lo, v23, v3, vcc_lo
	v_pack_b32_f16 v6, v69, v67
	v_add_f16_e32 v73, v73, v78
	v_add_f16_e64 v60, v65, v150
	v_add_f16_e64 v65, v70, v156
	v_add_f16_e32 v70, v75, v126
	v_add_f16_e32 v115, v115, v117
	v_add_f16_e64 v117, v157, v158
	s_clause 0x1
	global_store_b32 v[0:1], v13, off
	global_store_b32 v[2:3], v6, off
	v_add_nc_u32_e32 v6, 0x2d8, v7
	v_add_nc_u32_e32 v12, 0x333, v7
	v_add_co_u32 v8, vcc_lo, v17, v8
	s_wait_alu 0xfffd
	v_add_co_ci_u32_e32 v9, vcc_lo, v23, v9, vcc_lo
	v_pack_b32_f16 v10, v70, v73
	v_add_nc_u32_e32 v13, 0x38e, v7
	v_add_f16_e32 v86, v103, v106
	v_add_f16_e64 v97, v117, v159
	v_lshlrev_b64_e32 v[0:1], 2, v[4:5]
	v_mad_co_u64_u32 v[2:3], null, s16, v6, 0
	v_mad_co_u64_u32 v[4:5], null, s16, v12, 0
	global_store_b32 v[8:9], v10, off
	v_mad_co_u64_u32 v[8:9], null, s16, v13, 0
	v_add_f16_e32 v94, v115, v118
	v_add_f16_e32 v57, v68, v83
	;; [unrolled: 1-line block ×4, first 2 shown]
	v_add_f16_e64 v82, v97, v160
	v_mad_co_u64_u32 v[10:11], null, s17, v6, v[3:4]
	v_add_f16_e32 v80, v94, v119
	v_add_f16_e64 v59, v62, v143
	v_add_f16_e32 v62, v68, v96
	v_add_f16_e32 v68, v76, v108
	v_add_f16_e64 v76, v82, v161
	v_mad_co_u64_u32 v[5:6], null, s17, v12, v[5:6]
	v_add_nc_u32_e32 v20, 0x3e9, v7
	v_mov_b32_e32 v6, v9
	v_add_f16_e32 v71, v80, v120
	v_add_f16_e64 v66, v76, v162
	v_mov_b32_e32 v3, v10
	v_mad_co_u64_u32 v[11:12], null, s16, v20, 0
	v_mad_co_u64_u32 v[9:10], null, s17, v13, v[6:7]
	v_add_co_u32 v0, vcc_lo, v17, v0
	v_add_nc_u32_e32 v10, 0x444, v7
	s_wait_alu 0xfffd
	v_add_co_ci_u32_e32 v1, vcc_lo, v23, v1, vcc_lo
	v_pack_b32_f16 v14, v66, v71
	v_lshlrev_b64_e32 v[4:5], 2, v[4:5]
	v_mad_co_u64_u32 v[6:7], null, s16, v10, 0
	v_lshlrev_b64_e32 v[8:9], 2, v[8:9]
	global_store_b32 v[0:1], v14, off
	v_lshlrev_b64_e32 v[0:1], 2, v[2:3]
	v_mov_b32_e32 v2, v12
	v_add_f16_e64 v15, v15, v132
	v_add_f16_e32 v57, v57, v84
	v_add_f16_e64 v59, v59, v144
	v_add_f16_e32 v16, v16, v37
	v_mad_co_u64_u32 v[2:3], null, s17, v20, v[2:3]
	v_mov_b32_e32 v3, v7
	v_add_co_u32 v0, vcc_lo, v17, v0
	s_wait_alu 0xfffd
	v_add_co_ci_u32_e32 v1, vcc_lo, v23, v1, vcc_lo
	s_delay_alu instid0(VALU_DEP_3) | instskip(SKIP_4) | instid1(VALU_DEP_3)
	v_mad_co_u64_u32 v[13:14], null, s17, v10, v[3:4]
	v_mov_b32_e32 v12, v2
	v_add_co_u32 v2, vcc_lo, v17, v4
	s_wait_alu 0xfffd
	v_add_co_ci_u32_e32 v3, vcc_lo, v23, v5, vcc_lo
	v_lshlrev_b64_e32 v[4:5], 2, v[11:12]
	v_mov_b32_e32 v7, v13
	v_add_co_u32 v8, vcc_lo, v17, v8
	s_wait_alu 0xfffd
	v_add_co_ci_u32_e32 v9, vcc_lo, v23, v9, vcc_lo
	s_delay_alu instid0(VALU_DEP_3)
	v_lshlrev_b64_e32 v[6:7], 2, v[6:7]
	v_add_co_u32 v4, vcc_lo, v17, v4
	v_pack_b32_f16 v20, v65, v68
	v_pack_b32_f16 v10, v60, v62
	s_wait_alu 0xfffd
	v_add_co_ci_u32_e32 v5, vcc_lo, v23, v5, vcc_lo
	v_pack_b32_f16 v11, v19, v15
	v_add_co_u32 v6, vcc_lo, v17, v6
	v_pack_b32_f16 v12, v59, v57
	s_wait_alu 0xfffd
	v_add_co_ci_u32_e32 v7, vcc_lo, v23, v7, vcc_lo
	v_pack_b32_f16 v13, v18, v16
	s_clause 0x4
	global_store_b32 v[0:1], v20, off
	global_store_b32 v[2:3], v10, off
	global_store_b32 v[8:9], v11, off
	global_store_b32 v[4:5], v12, off
	global_store_b32 v[6:7], v13, off
.LBB0_21:
	s_nop 0
	s_sendmsg sendmsg(MSG_DEALLOC_VGPRS)
	s_endpgm
	.section	.rodata,"a",@progbits
	.p2align	6, 0x0
	.amdhsa_kernel fft_rtc_back_len1183_factors_7_13_13_wgs_182_tpt_91_halfLds_half_op_CI_CI_sbrr_dirReg
		.amdhsa_group_segment_fixed_size 0
		.amdhsa_private_segment_fixed_size 0
		.amdhsa_kernarg_size 104
		.amdhsa_user_sgpr_count 2
		.amdhsa_user_sgpr_dispatch_ptr 0
		.amdhsa_user_sgpr_queue_ptr 0
		.amdhsa_user_sgpr_kernarg_segment_ptr 1
		.amdhsa_user_sgpr_dispatch_id 0
		.amdhsa_user_sgpr_private_segment_size 0
		.amdhsa_wavefront_size32 1
		.amdhsa_uses_dynamic_stack 0
		.amdhsa_enable_private_segment 0
		.amdhsa_system_sgpr_workgroup_id_x 1
		.amdhsa_system_sgpr_workgroup_id_y 0
		.amdhsa_system_sgpr_workgroup_id_z 0
		.amdhsa_system_sgpr_workgroup_info 0
		.amdhsa_system_vgpr_workitem_id 0
		.amdhsa_next_free_vgpr 165
		.amdhsa_next_free_sgpr 43
		.amdhsa_reserve_vcc 1
		.amdhsa_float_round_mode_32 0
		.amdhsa_float_round_mode_16_64 0
		.amdhsa_float_denorm_mode_32 3
		.amdhsa_float_denorm_mode_16_64 3
		.amdhsa_fp16_overflow 0
		.amdhsa_workgroup_processor_mode 1
		.amdhsa_memory_ordered 1
		.amdhsa_forward_progress 0
		.amdhsa_round_robin_scheduling 0
		.amdhsa_exception_fp_ieee_invalid_op 0
		.amdhsa_exception_fp_denorm_src 0
		.amdhsa_exception_fp_ieee_div_zero 0
		.amdhsa_exception_fp_ieee_overflow 0
		.amdhsa_exception_fp_ieee_underflow 0
		.amdhsa_exception_fp_ieee_inexact 0
		.amdhsa_exception_int_div_zero 0
	.end_amdhsa_kernel
	.text
.Lfunc_end0:
	.size	fft_rtc_back_len1183_factors_7_13_13_wgs_182_tpt_91_halfLds_half_op_CI_CI_sbrr_dirReg, .Lfunc_end0-fft_rtc_back_len1183_factors_7_13_13_wgs_182_tpt_91_halfLds_half_op_CI_CI_sbrr_dirReg
                                        ; -- End function
	.section	.AMDGPU.csdata,"",@progbits
; Kernel info:
; codeLenInByte = 12600
; NumSgprs: 45
; NumVgprs: 165
; ScratchSize: 0
; MemoryBound: 0
; FloatMode: 240
; IeeeMode: 1
; LDSByteSize: 0 bytes/workgroup (compile time only)
; SGPRBlocks: 5
; VGPRBlocks: 20
; NumSGPRsForWavesPerEU: 45
; NumVGPRsForWavesPerEU: 165
; Occupancy: 9
; WaveLimiterHint : 1
; COMPUTE_PGM_RSRC2:SCRATCH_EN: 0
; COMPUTE_PGM_RSRC2:USER_SGPR: 2
; COMPUTE_PGM_RSRC2:TRAP_HANDLER: 0
; COMPUTE_PGM_RSRC2:TGID_X_EN: 1
; COMPUTE_PGM_RSRC2:TGID_Y_EN: 0
; COMPUTE_PGM_RSRC2:TGID_Z_EN: 0
; COMPUTE_PGM_RSRC2:TIDIG_COMP_CNT: 0
	.text
	.p2alignl 7, 3214868480
	.fill 96, 4, 3214868480
	.type	__hip_cuid_b0f10018b8ce988b,@object ; @__hip_cuid_b0f10018b8ce988b
	.section	.bss,"aw",@nobits
	.globl	__hip_cuid_b0f10018b8ce988b
__hip_cuid_b0f10018b8ce988b:
	.byte	0                               ; 0x0
	.size	__hip_cuid_b0f10018b8ce988b, 1

	.ident	"AMD clang version 19.0.0git (https://github.com/RadeonOpenCompute/llvm-project roc-6.4.0 25133 c7fe45cf4b819c5991fe208aaa96edf142730f1d)"
	.section	".note.GNU-stack","",@progbits
	.addrsig
	.addrsig_sym __hip_cuid_b0f10018b8ce988b
	.amdgpu_metadata
---
amdhsa.kernels:
  - .args:
      - .actual_access:  read_only
        .address_space:  global
        .offset:         0
        .size:           8
        .value_kind:     global_buffer
      - .offset:         8
        .size:           8
        .value_kind:     by_value
      - .actual_access:  read_only
        .address_space:  global
        .offset:         16
        .size:           8
        .value_kind:     global_buffer
      - .actual_access:  read_only
        .address_space:  global
        .offset:         24
        .size:           8
        .value_kind:     global_buffer
      - .actual_access:  read_only
        .address_space:  global
        .offset:         32
        .size:           8
        .value_kind:     global_buffer
      - .offset:         40
        .size:           8
        .value_kind:     by_value
      - .actual_access:  read_only
        .address_space:  global
        .offset:         48
        .size:           8
        .value_kind:     global_buffer
      - .actual_access:  read_only
        .address_space:  global
        .offset:         56
        .size:           8
        .value_kind:     global_buffer
      - .offset:         64
        .size:           4
        .value_kind:     by_value
      - .actual_access:  read_only
        .address_space:  global
        .offset:         72
        .size:           8
        .value_kind:     global_buffer
      - .actual_access:  read_only
        .address_space:  global
        .offset:         80
        .size:           8
        .value_kind:     global_buffer
      - .actual_access:  read_only
        .address_space:  global
        .offset:         88
        .size:           8
        .value_kind:     global_buffer
      - .actual_access:  write_only
        .address_space:  global
        .offset:         96
        .size:           8
        .value_kind:     global_buffer
    .group_segment_fixed_size: 0
    .kernarg_segment_align: 8
    .kernarg_segment_size: 104
    .language:       OpenCL C
    .language_version:
      - 2
      - 0
    .max_flat_workgroup_size: 182
    .name:           fft_rtc_back_len1183_factors_7_13_13_wgs_182_tpt_91_halfLds_half_op_CI_CI_sbrr_dirReg
    .private_segment_fixed_size: 0
    .sgpr_count:     45
    .sgpr_spill_count: 0
    .symbol:         fft_rtc_back_len1183_factors_7_13_13_wgs_182_tpt_91_halfLds_half_op_CI_CI_sbrr_dirReg.kd
    .uniform_work_group_size: 1
    .uses_dynamic_stack: false
    .vgpr_count:     165
    .vgpr_spill_count: 0
    .wavefront_size: 32
    .workgroup_processor_mode: 1
amdhsa.target:   amdgcn-amd-amdhsa--gfx1201
amdhsa.version:
  - 1
  - 2
...

	.end_amdgpu_metadata
